;; amdgpu-corpus repo=ROCm/rocFFT kind=compiled arch=gfx1100 opt=O3
	.text
	.amdgcn_target "amdgcn-amd-amdhsa--gfx1100"
	.amdhsa_code_object_version 6
	.protected	fft_rtc_back_len480_factors_10_8_6_wgs_64_tpt_16_halfLds_dp_ip_CI_unitstride_sbrr_dirReg ; -- Begin function fft_rtc_back_len480_factors_10_8_6_wgs_64_tpt_16_halfLds_dp_ip_CI_unitstride_sbrr_dirReg
	.globl	fft_rtc_back_len480_factors_10_8_6_wgs_64_tpt_16_halfLds_dp_ip_CI_unitstride_sbrr_dirReg
	.p2align	8
	.type	fft_rtc_back_len480_factors_10_8_6_wgs_64_tpt_16_halfLds_dp_ip_CI_unitstride_sbrr_dirReg,@function
fft_rtc_back_len480_factors_10_8_6_wgs_64_tpt_16_halfLds_dp_ip_CI_unitstride_sbrr_dirReg: ; @fft_rtc_back_len480_factors_10_8_6_wgs_64_tpt_16_halfLds_dp_ip_CI_unitstride_sbrr_dirReg
; %bb.0:
	s_clause 0x2
	s_load_b128 s[4:7], s[0:1], 0x0
	s_load_b64 s[8:9], s[0:1], 0x50
	s_load_b64 s[10:11], s[0:1], 0x18
	v_lshrrev_b32_e32 v54, 4, v0
	v_mov_b32_e32 v1, 0
	v_mov_b32_e32 v3, 0
	;; [unrolled: 1-line block ×3, first 2 shown]
	s_delay_alu instid0(VALU_DEP_4) | instskip(NEXT) | instid1(VALU_DEP_4)
	v_lshl_or_b32 v5, s15, 2, v54
	v_mov_b32_e32 v6, v1
	s_waitcnt lgkmcnt(0)
	v_cmp_lt_u64_e64 s2, s[6:7], 2
	s_delay_alu instid0(VALU_DEP_1)
	s_and_b32 vcc_lo, exec_lo, s2
	s_cbranch_vccnz .LBB0_8
; %bb.1:
	s_load_b64 s[2:3], s[0:1], 0x10
	v_mov_b32_e32 v3, 0
	s_add_u32 s12, s10, 8
	v_mov_b32_e32 v4, 0
	s_addc_u32 s13, s11, 0
	s_mov_b64 s[16:17], 1
	s_waitcnt lgkmcnt(0)
	s_add_u32 s14, s2, 8
	s_addc_u32 s15, s3, 0
.LBB0_2:                                ; =>This Inner Loop Header: Depth=1
	s_load_b64 s[18:19], s[14:15], 0x0
                                        ; implicit-def: $vgpr7_vgpr8
	s_mov_b32 s2, exec_lo
	s_waitcnt lgkmcnt(0)
	v_or_b32_e32 v2, s19, v6
	s_delay_alu instid0(VALU_DEP_1)
	v_cmpx_ne_u64_e32 0, v[1:2]
	s_xor_b32 s3, exec_lo, s2
	s_cbranch_execz .LBB0_4
; %bb.3:                                ;   in Loop: Header=BB0_2 Depth=1
	v_cvt_f32_u32_e32 v2, s18
	v_cvt_f32_u32_e32 v7, s19
	s_sub_u32 s2, 0, s18
	s_subb_u32 s20, 0, s19
	s_delay_alu instid0(VALU_DEP_1) | instskip(NEXT) | instid1(VALU_DEP_1)
	v_fmac_f32_e32 v2, 0x4f800000, v7
	v_rcp_f32_e32 v2, v2
	s_waitcnt_depctr 0xfff
	v_mul_f32_e32 v2, 0x5f7ffffc, v2
	s_delay_alu instid0(VALU_DEP_1) | instskip(NEXT) | instid1(VALU_DEP_1)
	v_mul_f32_e32 v7, 0x2f800000, v2
	v_trunc_f32_e32 v7, v7
	s_delay_alu instid0(VALU_DEP_1) | instskip(SKIP_1) | instid1(VALU_DEP_2)
	v_fmac_f32_e32 v2, 0xcf800000, v7
	v_cvt_u32_f32_e32 v7, v7
	v_cvt_u32_f32_e32 v2, v2
	s_delay_alu instid0(VALU_DEP_2) | instskip(NEXT) | instid1(VALU_DEP_2)
	v_mul_lo_u32 v8, s2, v7
	v_mul_hi_u32 v9, s2, v2
	v_mul_lo_u32 v10, s20, v2
	s_delay_alu instid0(VALU_DEP_2) | instskip(SKIP_1) | instid1(VALU_DEP_2)
	v_add_nc_u32_e32 v8, v9, v8
	v_mul_lo_u32 v9, s2, v2
	v_add_nc_u32_e32 v8, v8, v10
	s_delay_alu instid0(VALU_DEP_2) | instskip(NEXT) | instid1(VALU_DEP_2)
	v_mul_hi_u32 v10, v2, v9
	v_mul_lo_u32 v11, v2, v8
	v_mul_hi_u32 v12, v2, v8
	v_mul_hi_u32 v13, v7, v9
	v_mul_lo_u32 v9, v7, v9
	v_mul_hi_u32 v14, v7, v8
	v_mul_lo_u32 v8, v7, v8
	v_add_co_u32 v10, vcc_lo, v10, v11
	v_add_co_ci_u32_e32 v11, vcc_lo, 0, v12, vcc_lo
	s_delay_alu instid0(VALU_DEP_2) | instskip(NEXT) | instid1(VALU_DEP_2)
	v_add_co_u32 v9, vcc_lo, v10, v9
	v_add_co_ci_u32_e32 v9, vcc_lo, v11, v13, vcc_lo
	v_add_co_ci_u32_e32 v10, vcc_lo, 0, v14, vcc_lo
	s_delay_alu instid0(VALU_DEP_2) | instskip(NEXT) | instid1(VALU_DEP_2)
	v_add_co_u32 v8, vcc_lo, v9, v8
	v_add_co_ci_u32_e32 v9, vcc_lo, 0, v10, vcc_lo
	s_delay_alu instid0(VALU_DEP_2) | instskip(NEXT) | instid1(VALU_DEP_2)
	v_add_co_u32 v2, vcc_lo, v2, v8
	v_add_co_ci_u32_e32 v7, vcc_lo, v7, v9, vcc_lo
	s_delay_alu instid0(VALU_DEP_2) | instskip(SKIP_1) | instid1(VALU_DEP_3)
	v_mul_hi_u32 v8, s2, v2
	v_mul_lo_u32 v10, s20, v2
	v_mul_lo_u32 v9, s2, v7
	s_delay_alu instid0(VALU_DEP_1) | instskip(SKIP_1) | instid1(VALU_DEP_2)
	v_add_nc_u32_e32 v8, v8, v9
	v_mul_lo_u32 v9, s2, v2
	v_add_nc_u32_e32 v8, v8, v10
	s_delay_alu instid0(VALU_DEP_2) | instskip(NEXT) | instid1(VALU_DEP_2)
	v_mul_hi_u32 v10, v2, v9
	v_mul_lo_u32 v11, v2, v8
	v_mul_hi_u32 v12, v2, v8
	v_mul_hi_u32 v13, v7, v9
	v_mul_lo_u32 v9, v7, v9
	v_mul_hi_u32 v14, v7, v8
	v_mul_lo_u32 v8, v7, v8
	v_add_co_u32 v10, vcc_lo, v10, v11
	v_add_co_ci_u32_e32 v11, vcc_lo, 0, v12, vcc_lo
	s_delay_alu instid0(VALU_DEP_2) | instskip(NEXT) | instid1(VALU_DEP_2)
	v_add_co_u32 v9, vcc_lo, v10, v9
	v_add_co_ci_u32_e32 v9, vcc_lo, v11, v13, vcc_lo
	v_add_co_ci_u32_e32 v10, vcc_lo, 0, v14, vcc_lo
	s_delay_alu instid0(VALU_DEP_2) | instskip(NEXT) | instid1(VALU_DEP_2)
	v_add_co_u32 v8, vcc_lo, v9, v8
	v_add_co_ci_u32_e32 v9, vcc_lo, 0, v10, vcc_lo
	s_delay_alu instid0(VALU_DEP_2) | instskip(NEXT) | instid1(VALU_DEP_2)
	v_add_co_u32 v2, vcc_lo, v2, v8
	v_add_co_ci_u32_e32 v13, vcc_lo, v7, v9, vcc_lo
	s_delay_alu instid0(VALU_DEP_2) | instskip(SKIP_1) | instid1(VALU_DEP_3)
	v_mul_hi_u32 v14, v5, v2
	v_mad_u64_u32 v[9:10], null, v6, v2, 0
	v_mad_u64_u32 v[7:8], null, v5, v13, 0
	;; [unrolled: 1-line block ×3, first 2 shown]
	s_delay_alu instid0(VALU_DEP_2) | instskip(NEXT) | instid1(VALU_DEP_3)
	v_add_co_u32 v2, vcc_lo, v14, v7
	v_add_co_ci_u32_e32 v7, vcc_lo, 0, v8, vcc_lo
	s_delay_alu instid0(VALU_DEP_2) | instskip(NEXT) | instid1(VALU_DEP_2)
	v_add_co_u32 v2, vcc_lo, v2, v9
	v_add_co_ci_u32_e32 v2, vcc_lo, v7, v10, vcc_lo
	v_add_co_ci_u32_e32 v7, vcc_lo, 0, v12, vcc_lo
	s_delay_alu instid0(VALU_DEP_2) | instskip(NEXT) | instid1(VALU_DEP_2)
	v_add_co_u32 v2, vcc_lo, v2, v11
	v_add_co_ci_u32_e32 v9, vcc_lo, 0, v7, vcc_lo
	s_delay_alu instid0(VALU_DEP_2) | instskip(SKIP_1) | instid1(VALU_DEP_3)
	v_mul_lo_u32 v10, s19, v2
	v_mad_u64_u32 v[7:8], null, s18, v2, 0
	v_mul_lo_u32 v11, s18, v9
	s_delay_alu instid0(VALU_DEP_2) | instskip(NEXT) | instid1(VALU_DEP_2)
	v_sub_co_u32 v7, vcc_lo, v5, v7
	v_add3_u32 v8, v8, v11, v10
	s_delay_alu instid0(VALU_DEP_1) | instskip(NEXT) | instid1(VALU_DEP_1)
	v_sub_nc_u32_e32 v10, v6, v8
	v_subrev_co_ci_u32_e64 v10, s2, s19, v10, vcc_lo
	v_add_co_u32 v11, s2, v2, 2
	s_delay_alu instid0(VALU_DEP_1) | instskip(SKIP_3) | instid1(VALU_DEP_3)
	v_add_co_ci_u32_e64 v12, s2, 0, v9, s2
	v_sub_co_u32 v13, s2, v7, s18
	v_sub_co_ci_u32_e32 v8, vcc_lo, v6, v8, vcc_lo
	v_subrev_co_ci_u32_e64 v10, s2, 0, v10, s2
	v_cmp_le_u32_e32 vcc_lo, s18, v13
	s_delay_alu instid0(VALU_DEP_3) | instskip(SKIP_1) | instid1(VALU_DEP_4)
	v_cmp_eq_u32_e64 s2, s19, v8
	v_cndmask_b32_e64 v13, 0, -1, vcc_lo
	v_cmp_le_u32_e32 vcc_lo, s19, v10
	v_cndmask_b32_e64 v14, 0, -1, vcc_lo
	v_cmp_le_u32_e32 vcc_lo, s18, v7
	;; [unrolled: 2-line block ×3, first 2 shown]
	v_cndmask_b32_e64 v15, 0, -1, vcc_lo
	v_cmp_eq_u32_e32 vcc_lo, s19, v10
	s_delay_alu instid0(VALU_DEP_2) | instskip(SKIP_3) | instid1(VALU_DEP_3)
	v_cndmask_b32_e64 v7, v15, v7, s2
	v_cndmask_b32_e32 v10, v14, v13, vcc_lo
	v_add_co_u32 v13, vcc_lo, v2, 1
	v_add_co_ci_u32_e32 v14, vcc_lo, 0, v9, vcc_lo
	v_cmp_ne_u32_e32 vcc_lo, 0, v10
	s_delay_alu instid0(VALU_DEP_2) | instskip(NEXT) | instid1(VALU_DEP_4)
	v_cndmask_b32_e32 v8, v14, v12, vcc_lo
	v_cndmask_b32_e32 v10, v13, v11, vcc_lo
	v_cmp_ne_u32_e32 vcc_lo, 0, v7
	s_delay_alu instid0(VALU_DEP_2)
	v_dual_cndmask_b32 v7, v2, v10 :: v_dual_cndmask_b32 v8, v9, v8
.LBB0_4:                                ;   in Loop: Header=BB0_2 Depth=1
	s_and_not1_saveexec_b32 s2, s3
	s_cbranch_execz .LBB0_6
; %bb.5:                                ;   in Loop: Header=BB0_2 Depth=1
	v_cvt_f32_u32_e32 v2, s18
	s_sub_i32 s3, 0, s18
	s_delay_alu instid0(VALU_DEP_1) | instskip(SKIP_2) | instid1(VALU_DEP_1)
	v_rcp_iflag_f32_e32 v2, v2
	s_waitcnt_depctr 0xfff
	v_mul_f32_e32 v2, 0x4f7ffffe, v2
	v_cvt_u32_f32_e32 v2, v2
	s_delay_alu instid0(VALU_DEP_1) | instskip(NEXT) | instid1(VALU_DEP_1)
	v_mul_lo_u32 v7, s3, v2
	v_mul_hi_u32 v7, v2, v7
	s_delay_alu instid0(VALU_DEP_1) | instskip(NEXT) | instid1(VALU_DEP_1)
	v_add_nc_u32_e32 v2, v2, v7
	v_mul_hi_u32 v2, v5, v2
	s_delay_alu instid0(VALU_DEP_1) | instskip(SKIP_1) | instid1(VALU_DEP_2)
	v_mul_lo_u32 v7, v2, s18
	v_add_nc_u32_e32 v8, 1, v2
	v_sub_nc_u32_e32 v7, v5, v7
	s_delay_alu instid0(VALU_DEP_1) | instskip(SKIP_1) | instid1(VALU_DEP_2)
	v_subrev_nc_u32_e32 v9, s18, v7
	v_cmp_le_u32_e32 vcc_lo, s18, v7
	v_dual_cndmask_b32 v7, v7, v9 :: v_dual_cndmask_b32 v2, v2, v8
	s_delay_alu instid0(VALU_DEP_1) | instskip(NEXT) | instid1(VALU_DEP_2)
	v_cmp_le_u32_e32 vcc_lo, s18, v7
	v_add_nc_u32_e32 v8, 1, v2
	s_delay_alu instid0(VALU_DEP_1)
	v_dual_cndmask_b32 v7, v2, v8 :: v_dual_mov_b32 v8, v1
.LBB0_6:                                ;   in Loop: Header=BB0_2 Depth=1
	s_or_b32 exec_lo, exec_lo, s2
	s_load_b64 s[2:3], s[12:13], 0x0
	s_delay_alu instid0(VALU_DEP_1) | instskip(NEXT) | instid1(VALU_DEP_2)
	v_mul_lo_u32 v2, v8, s18
	v_mul_lo_u32 v11, v7, s19
	v_mad_u64_u32 v[9:10], null, v7, s18, 0
	s_add_u32 s16, s16, 1
	s_addc_u32 s17, s17, 0
	s_add_u32 s12, s12, 8
	s_addc_u32 s13, s13, 0
	;; [unrolled: 2-line block ×3, first 2 shown]
	s_delay_alu instid0(VALU_DEP_1) | instskip(SKIP_1) | instid1(VALU_DEP_2)
	v_add3_u32 v2, v10, v11, v2
	v_sub_co_u32 v9, vcc_lo, v5, v9
	v_sub_co_ci_u32_e32 v2, vcc_lo, v6, v2, vcc_lo
	s_waitcnt lgkmcnt(0)
	s_delay_alu instid0(VALU_DEP_2) | instskip(NEXT) | instid1(VALU_DEP_2)
	v_mul_lo_u32 v10, s3, v9
	v_mul_lo_u32 v2, s2, v2
	v_mad_u64_u32 v[5:6], null, s2, v9, v[3:4]
	v_cmp_ge_u64_e64 s2, s[16:17], s[6:7]
	s_delay_alu instid0(VALU_DEP_1) | instskip(NEXT) | instid1(VALU_DEP_2)
	s_and_b32 vcc_lo, exec_lo, s2
	v_add3_u32 v4, v10, v6, v2
	s_delay_alu instid0(VALU_DEP_3)
	v_mov_b32_e32 v3, v5
	s_cbranch_vccnz .LBB0_9
; %bb.7:                                ;   in Loop: Header=BB0_2 Depth=1
	v_dual_mov_b32 v5, v7 :: v_dual_mov_b32 v6, v8
	s_branch .LBB0_2
.LBB0_8:
	v_dual_mov_b32 v8, v6 :: v_dual_mov_b32 v7, v5
.LBB0_9:
	s_lshl_b64 s[2:3], s[6:7], 3
	v_and_b32_e32 v205, 15, v0
	s_add_u32 s2, s10, s2
	s_addc_u32 s3, s11, s3
	s_load_b64 s[2:3], s[2:3], 0x0
	s_load_b64 s[0:1], s[0:1], 0x20
	v_or_b32_e32 v202, 16, v205
	v_or_b32_e32 v203, 32, v205
	;; [unrolled: 1-line block ×3, first 2 shown]
	s_waitcnt lgkmcnt(0)
	v_mul_lo_u32 v2, s2, v8
	v_mul_lo_u32 v5, s3, v7
	v_mad_u64_u32 v[0:1], null, s2, v7, v[3:4]
	v_cmp_gt_u64_e32 vcc_lo, s[0:1], v[7:8]
	v_cmp_le_u64_e64 s0, s[0:1], v[7:8]
	s_delay_alu instid0(VALU_DEP_3) | instskip(NEXT) | instid1(VALU_DEP_2)
	v_add3_u32 v1, v5, v1, v2
	s_and_saveexec_b32 s1, s0
	s_delay_alu instid0(SALU_CYCLE_1)
	s_xor_b32 s0, exec_lo, s1
; %bb.10:
	v_or_b32_e32 v202, 16, v205
	v_or_b32_e32 v203, 32, v205
	;; [unrolled: 1-line block ×3, first 2 shown]
; %bb.11:
	s_or_saveexec_b32 s1, s0
	v_lshlrev_b64 v[174:175], 4, v[0:1]
	v_lshlrev_b32_e32 v208, 4, v205
                                        ; implicit-def: $vgpr76_vgpr77
                                        ; implicit-def: $vgpr122_vgpr123
                                        ; implicit-def: $vgpr44_vgpr45
                                        ; implicit-def: $vgpr10_vgpr11
                                        ; implicit-def: $vgpr2_vgpr3
                                        ; implicit-def: $vgpr94_vgpr95
                                        ; implicit-def: $vgpr22_vgpr23
                                        ; implicit-def: $vgpr40_vgpr41
                                        ; implicit-def: $vgpr52_vgpr53
                                        ; implicit-def: $vgpr82_vgpr83
                                        ; implicit-def: $vgpr72_vgpr73
                                        ; implicit-def: $vgpr110_vgpr111
                                        ; implicit-def: $vgpr118_vgpr119
                                        ; implicit-def: $vgpr102_vgpr103
                                        ; implicit-def: $vgpr86_vgpr87
                                        ; implicit-def: $vgpr90_vgpr91
                                        ; implicit-def: $vgpr106_vgpr107
                                        ; implicit-def: $vgpr114_vgpr115
                                        ; implicit-def: $vgpr130_vgpr131
                                        ; implicit-def: $vgpr98_vgpr99
                                        ; implicit-def: $vgpr48_vgpr49
                                        ; implicit-def: $vgpr64_vgpr65
                                        ; implicit-def: $vgpr68_vgpr69
                                        ; implicit-def: $vgpr136_vgpr137
                                        ; implicit-def: $vgpr36_vgpr37
                                        ; implicit-def: $vgpr6_vgpr7
                                        ; implicit-def: $vgpr14_vgpr15
                                        ; implicit-def: $vgpr126_vgpr127
                                        ; implicit-def: $vgpr30_vgpr31
                                        ; implicit-def: $vgpr26_vgpr27
	s_xor_b32 exec_lo, exec_lo, s1
	s_cbranch_execz .LBB0_13
; %bb.12:
	s_delay_alu instid0(VALU_DEP_1) | instskip(NEXT) | instid1(VALU_DEP_3)
	v_or_b32_e32 v0, 0x1200, v208
	v_add_co_u32 v61, s0, s8, v174
	s_delay_alu instid0(VALU_DEP_1) | instskip(SKIP_1) | instid1(VALU_DEP_3)
	v_add_co_ci_u32_e64 v79, s0, s9, v175, s0
	v_or_b32_e32 v2, 0x1500, v208
	v_add_co_u32 v0, s0, v61, v0
	v_or_b32_e32 v4, 0x1800, v208
	s_delay_alu instid0(VALU_DEP_4) | instskip(NEXT) | instid1(VALU_DEP_4)
	v_add_co_ci_u32_e64 v1, s0, 0, v79, s0
	v_add_co_u32 v2, s0, v61, v2
	v_or_b32_e32 v6, 0x1b00, v208
	v_add_co_ci_u32_e64 v3, s0, 0, v79, s0
	v_add_co_u32 v4, s0, v61, v4
	s_delay_alu instid0(VALU_DEP_1) | instskip(NEXT) | instid1(VALU_DEP_4)
	v_add_co_ci_u32_e64 v5, s0, 0, v79, s0
	v_add_co_u32 v16, s0, v61, v6
	s_delay_alu instid0(VALU_DEP_1) | instskip(SKIP_1) | instid1(VALU_DEP_1)
	v_add_co_ci_u32_e64 v17, s0, 0, v79, s0
	v_add_co_u32 v18, s0, v61, v208
	v_add_co_ci_u32_e64 v19, s0, 0, v79, s0
	s_clause 0x7
	global_load_b128 v[8:11], v[0:1], off
	global_load_b128 v[12:15], v[2:3], off
	;; [unrolled: 1-line block ×5, first 2 shown]
	global_load_b128 v[34:37], v[18:19], off offset:256
	global_load_b128 v[28:31], v[18:19], off offset:1536
	;; [unrolled: 1-line block ×3, first 2 shown]
	v_or_b32_e32 v16, 0x1000, v208
	v_or_b32_e32 v32, 0x1300, v208
	;; [unrolled: 1-line block ×5, first 2 shown]
	v_add_co_u32 v16, s0, v61, v16
	s_delay_alu instid0(VALU_DEP_1) | instskip(SKIP_1) | instid1(VALU_DEP_1)
	v_add_co_ci_u32_e64 v17, s0, 0, v79, s0
	v_add_co_u32 v32, s0, v61, v32
	v_add_co_ci_u32_e64 v33, s0, 0, v79, s0
	v_add_co_u32 v46, s0, v61, v46
	s_delay_alu instid0(VALU_DEP_1) | instskip(SKIP_1) | instid1(VALU_DEP_1)
	v_add_co_ci_u32_e64 v47, s0, 0, v79, s0
	v_add_co_u32 v48, s0, v61, v48
	v_add_co_ci_u32_e64 v49, s0, 0, v79, s0
	s_clause 0x5
	global_load_b128 v[42:45], v[18:19], off offset:3072
	global_load_b128 v[38:41], v[18:19], off offset:3328
	global_load_b128 v[66:69], v[16:17], off
	global_load_b128 v[62:65], v[32:33], off
	;; [unrolled: 1-line block ×4, first 2 shown]
	v_or_b32_e32 v32, 0x1100, v208
	v_add_co_u32 v16, s0, v61, v55
	v_or_b32_e32 v55, 0x1400, v208
	v_add_co_ci_u32_e64 v17, s0, 0, v79, s0
	s_delay_alu instid0(VALU_DEP_4)
	v_add_co_u32 v32, s0, v61, v32
	v_or_b32_e32 v57, 0x1700, v208
	v_add_co_ci_u32_e64 v33, s0, 0, v79, s0
	v_add_co_u32 v55, s0, v61, v55
	v_or_b32_e32 v59, 0x1a00, v208
	v_add_co_ci_u32_e64 v56, s0, 0, v79, s0
	;; [unrolled: 3-line block ×3, first 2 shown]
	v_add_co_u32 v59, s0, v61, v59
	s_delay_alu instid0(VALU_DEP_1) | instskip(NEXT) | instid1(VALU_DEP_4)
	v_add_co_ci_u32_e64 v60, s0, 0, v79, s0
	v_add_co_u32 v78, s0, v61, v78
	s_clause 0x3
	global_load_b128 v[74:77], v[18:19], off offset:768
	global_load_b128 v[70:73], v[18:19], off offset:512
	;; [unrolled: 1-line block ×4, first 2 shown]
	v_add_co_ci_u32_e64 v79, s0, 0, v79, s0
	s_clause 0xb
	global_load_b128 v[120:123], v[18:19], off offset:2304
	global_load_b128 v[108:111], v[18:19], off offset:2048
	;; [unrolled: 1-line block ×6, first 2 shown]
	global_load_b128 v[80:83], v[16:17], off
	global_load_b128 v[116:119], v[32:33], off
	;; [unrolled: 1-line block ×6, first 2 shown]
.LBB0_13:
	s_or_b32 exec_lo, exec_lo, s1
	s_waitcnt vmcnt(7)
	v_add_f64 v[16:17], v[14:15], v[126:127]
	v_add_f64 v[18:19], v[122:123], v[2:3]
	v_add_f64 v[32:33], v[52:53], v[68:69]
	s_waitcnt vmcnt(5)
	v_add_f64 v[55:56], v[82:83], v[136:137]
	v_add_f64 v[57:58], v[12:13], v[124:125]
	;; [unrolled: 1-line block ×3, first 2 shown]
	v_add_f64 v[78:79], v[120:121], -v[0:1]
	v_add_f64 v[132:133], v[124:125], -v[12:13]
	v_add_f64 v[140:141], v[50:51], v[66:67]
	v_add_f64 v[142:143], v[80:81], v[134:135]
	v_add_f64 v[144:145], v[134:135], -v[80:81]
	v_add_f64 v[146:147], v[66:67], -v[50:51]
	s_mov_b32 s12, 0x134454ff
	s_mov_b32 s13, 0xbfee6f0e
	;; [unrolled: 1-line block ×4, first 2 shown]
	v_add_f64 v[162:163], v[122:123], -v[126:127]
	v_add_f64 v[164:165], v[2:3], -v[14:15]
	;; [unrolled: 1-line block ×4, first 2 shown]
	v_add_f64 v[170:171], v[42:43], v[8:9]
	v_add_f64 v[172:173], v[4:5], v[28:29]
	v_add_f64 v[178:179], v[122:123], -v[2:3]
	v_add_f64 v[176:177], v[126:127], -v[14:15]
	;; [unrolled: 1-line block ×4, first 2 shown]
	v_add_f64 v[184:185], v[38:39], v[62:63]
	v_add_f64 v[186:187], v[68:69], -v[136:137]
	v_add_f64 v[194:195], v[52:53], -v[82:83]
	v_add_f64 v[196:197], v[20:21], v[46:47]
	v_add_f64 v[198:199], v[136:137], -v[82:83]
	v_add_f64 v[200:201], v[68:69], -v[52:53]
	s_mov_b32 s10, 0x4755a5e
	s_mov_b32 s11, 0xbfe2cf23
	;; [unrolled: 1-line block ×4, first 2 shown]
	v_add_f64 v[154:155], v[120:121], -v[124:125]
	v_add_f64 v[156:157], v[0:1], -v[12:13]
	v_fma_f64 v[16:17], v[16:17], -0.5, v[76:77]
	v_fma_f64 v[18:19], v[18:19], -0.5, v[76:77]
	v_fma_f64 v[32:33], v[32:33], -0.5, v[94:95]
	v_fma_f64 v[55:56], v[55:56], -0.5, v[94:95]
	v_fma_f64 v[57:58], v[57:58], -0.5, v[74:75]
	v_fma_f64 v[59:60], v[59:60], -0.5, v[74:75]
	v_add_f64 v[158:159], v[124:125], -v[120:121]
	v_add_f64 v[160:161], v[12:13], -v[0:1]
	v_fma_f64 v[140:141], v[140:141], -0.5, v[92:93]
	v_fma_f64 v[142:143], v[142:143], -0.5, v[92:93]
	v_add_f64 v[188:189], v[30:31], -v[6:7]
	v_add_f64 v[211:212], v[44:45], -v[10:11]
	v_add_f64 v[213:214], v[28:29], v[24:25]
	v_add_f64 v[74:75], v[74:75], v[120:121]
	v_add_f64 v[120:121], v[134:135], -v[66:67]
	v_add_f64 v[215:216], v[80:81], -v[50:51]
	;; [unrolled: 1-line block ×6, first 2 shown]
	v_add_f64 v[225:226], v[20:21], v[34:35]
	v_add_f64 v[92:93], v[92:93], v[134:135]
	v_fma_f64 v[134:135], v[170:171], -0.5, v[24:25]
	v_add_f64 v[162:163], v[164:165], v[162:163]
	v_fma_f64 v[24:25], v[172:173], -0.5, v[24:25]
	;; [unrolled: 2-line block ×3, first 2 shown]
	v_add_f64 v[168:169], v[182:183], v[180:181]
	s_mov_b32 s14, 0x372fe950
	v_fma_f64 v[34:35], v[196:197], -0.5, v[34:35]
	s_mov_b32 s15, 0x3fd3c6ef
	v_add_f64 v[138:139], v[28:29], -v[42:43]
	v_add_f64 v[148:149], v[4:5], -v[8:9]
	;; [unrolled: 1-line block ×4, first 2 shown]
	s_mov_b32 s16, 0x9b97f4a8
	s_mov_b32 s17, 0x3fe9e377
	v_add_f64 v[154:155], v[156:157], v[154:155]
	v_fma_f64 v[190:191], v[78:79], s[2:3], v[16:17]
	v_fma_f64 v[192:193], v[132:133], s[12:13], v[18:19]
	;; [unrolled: 1-line block ×12, first 2 shown]
	v_add_f64 v[156:157], v[160:161], v[158:159]
	v_add_f64 v[158:159], v[42:43], v[213:214]
	;; [unrolled: 1-line block ×4, first 2 shown]
	s_mov_b32 s19, 0xbfd3c6ef
	v_add_f64 v[160:161], v[219:220], v[217:218]
	s_mov_b32 s1, 0xbfe9e377
	s_mov_b32 s18, s14
	v_add_f64 v[124:125], v[38:39], v[225:226]
	v_add_f64 v[92:93], v[66:67], v[92:93]
	v_fma_f64 v[196:197], v[188:189], s[12:13], v[134:135]
	v_fma_f64 v[134:135], v[188:189], s[2:3], v[134:135]
	s_mov_b32 s0, s16
	s_waitcnt vmcnt(0)
	v_add_f64 v[217:218], v[90:91], v[130:131]
	v_fma_f64 v[213:214], v[221:222], s[12:13], v[166:167]
	v_fma_f64 v[166:167], v[221:222], s[2:3], v[166:167]
	v_add_f64 v[219:220], v[128:129], -v[88:89]
	v_add_f64 v[215:216], v[88:89], -v[100:101]
	;; [unrolled: 1-line block ×6, first 2 shown]
	v_mul_u32_u24_e32 v54, 0x1e0, v54
	v_fma_f64 v[172:173], v[132:133], s[6:7], v[190:191]
	v_fma_f64 v[182:183], v[78:79], s[6:7], v[192:193]
	;; [unrolled: 1-line block ×4, first 2 shown]
	v_add_f64 v[78:79], v[194:195], v[186:187]
	v_fma_f64 v[132:133], v[198:199], s[12:13], v[140:141]
	v_fma_f64 v[140:141], v[198:199], s[2:3], v[140:141]
	v_fma_f64 v[184:185], v[146:147], s[6:7], v[206:207]
	v_fma_f64 v[186:187], v[200:201], s[2:3], v[142:143]
	v_fma_f64 v[142:143], v[200:201], s[12:13], v[142:143]
	v_fma_f64 v[55:56], v[144:145], s[10:11], v[55:56]
	v_fma_f64 v[32:33], v[146:147], s[10:11], v[32:33]
	v_fma_f64 v[190:191], v[144:145], s[6:7], v[209:210]
	v_add_f64 v[144:145], v[20:21], -v[38:39]
	v_add_f64 v[146:147], v[46:47], -v[62:63]
	;; [unrolled: 1-line block ×4, first 2 shown]
	v_fma_f64 v[206:207], v[211:212], s[2:3], v[24:25]
	v_fma_f64 v[209:210], v[211:212], s[12:13], v[24:25]
	;; [unrolled: 1-line block ×5, first 2 shown]
	v_add_f64 v[92:93], v[50:51], v[92:93]
	v_fma_f64 v[134:135], v[211:212], s[6:7], v[134:135]
	v_fma_f64 v[66:67], v[162:163], s[14:15], v[172:173]
	;; [unrolled: 1-line block ×16, first 2 shown]
	v_add_f64 v[32:33], v[148:149], v[138:139]
	v_add_f64 v[55:56], v[152:153], v[150:151]
	;; [unrolled: 1-line block ×7, first 2 shown]
	v_fma_f64 v[150:151], v[211:212], s[10:11], v[196:197]
	v_fma_f64 v[152:153], v[188:189], s[10:11], v[206:207]
	;; [unrolled: 1-line block ×8, first 2 shown]
	v_add_f64 v[80:81], v[80:81], v[92:93]
	v_add_f64 v[194:195], v[108:109], -v[112:113]
	v_add_f64 v[196:197], v[84:85], -v[104:105]
	;; [unrolled: 1-line block ×5, first 2 shown]
	v_add_f64 v[209:210], v[104:105], v[112:113]
	v_add_f64 v[211:212], v[114:115], -v[106:107]
	v_mul_f64 v[57:58], v[66:67], s[10:11]
	v_fma_f64 v[124:125], v[156:157], s[14:15], v[172:173]
	v_mul_f64 v[154:155], v[176:177], s[12:13]
	v_mul_f64 v[59:60], v[180:181], s[12:13]
	;; [unrolled: 1-line block ×3, first 2 shown]
	v_fma_f64 v[16:17], v[221:222], s[10:11], v[16:17]
	v_fma_f64 v[18:19], v[221:222], s[6:7], v[18:19]
	;; [unrolled: 1-line block ×4, first 2 shown]
	v_mul_f64 v[34:35], v[182:183], s[10:11]
	v_fma_f64 v[190:191], v[160:161], s[14:15], v[140:141]
	v_fma_f64 v[172:173], v[160:161], s[14:15], v[142:143]
	v_mul_f64 v[132:133], v[186:187], s[12:13]
	v_mul_f64 v[140:141], v[184:185], s[10:11]
	v_add_f64 v[160:161], v[118:119], v[102:103]
	v_mul_f64 v[120:121], v[24:25], s[12:13]
	v_add_f64 v[142:143], v[108:109], v[84:85]
	v_add_f64 v[223:224], v[116:117], -v[128:129]
	v_add_f64 v[144:145], v[4:5], v[144:145]
	v_add_f64 v[0:1], v[0:1], v[146:147]
	;; [unrolled: 1-line block ×3, first 2 shown]
	v_fma_f64 v[146:147], v[32:33], s[14:15], v[150:151]
	v_fma_f64 v[32:33], v[32:33], s[14:15], v[134:135]
	;; [unrolled: 1-line block ×15, first 2 shown]
	v_fma_f64 v[221:222], v[160:161], -0.5, v[98:99]
	v_fma_f64 v[120:121], v[190:191], s[14:15], v[120:121]
	v_fma_f64 v[213:214], v[142:143], -0.5, v[70:71]
	v_add_f64 v[55:56], v[0:1], v[144:145]
	v_add_f64 v[134:135], v[144:145], -v[0:1]
	v_add_f64 v[0:1], v[116:117], -v[100:101]
	v_add_f64 v[57:58], v[146:147], v[150:151]
	v_add_f64 v[138:139], v[146:147], -v[150:151]
	v_add_f64 v[140:141], v[152:153], -v[154:155]
	v_add_f64 v[142:143], v[154:155], v[152:153]
	v_add_f64 v[144:145], v[59:60], v[158:159]
	;; [unrolled: 1-line block ×3, first 2 shown]
	v_add_f64 v[146:147], v[158:159], -v[59:60]
	v_add_f64 v[148:149], v[32:33], -v[156:157]
	v_add_f64 v[150:151], v[80:81], v[166:167]
	v_add_f64 v[156:157], v[166:167], -v[80:81]
	v_add_f64 v[152:153], v[92:93], v[34:35]
	;; [unrolled: 2-line block ×3, first 2 shown]
	v_add_f64 v[154:155], v[78:79], v[192:193]
	v_add_f64 v[166:167], v[18:19], -v[168:169]
	v_add_f64 v[168:169], v[78:79], -v[192:193]
	v_add_f64 v[18:19], v[196:197], v[194:195]
	v_add_f64 v[59:60], v[200:201], v[198:199]
	v_fma_f64 v[92:93], v[217:218], -0.5, v[98:99]
	v_fma_f64 v[192:193], v[219:220], s[2:3], v[221:222]
	v_fma_f64 v[194:195], v[219:220], s[12:13], v[221:222]
	v_add_f64 v[196:197], v[116:117], v[100:101]
	v_add_f64 v[200:201], v[88:89], v[128:129]
	v_add_f64 v[160:161], v[16:17], -v[120:121]
	v_add_f64 v[162:163], v[16:17], v[120:121]
	v_add_f64 v[16:17], v[118:119], -v[130:131]
	v_add_f64 v[32:33], v[102:103], -v[90:91]
	v_fma_f64 v[34:35], v[209:210], -0.5, v[70:71]
	v_add_f64 v[120:121], v[215:216], v[206:207]
	v_add_f64 v[215:216], v[118:119], -v[102:103]
	v_fma_f64 v[78:79], v[211:212], s[2:3], v[213:214]
	v_fma_f64 v[80:81], v[211:212], s[12:13], v[213:214]
	v_add_f64 v[198:199], v[229:230], v[227:228]
	v_add_f64 v[206:207], v[225:226], v[223:224]
	v_fma_f64 v[209:210], v[0:1], s[12:13], v[92:93]
	v_fma_f64 v[92:93], v[0:1], s[2:3], v[92:93]
	;; [unrolled: 1-line block ×4, first 2 shown]
	v_add_f64 v[0:1], v[130:131], -v[90:91]
	v_fma_f64 v[196:197], v[196:197], -0.5, v[96:97]
	v_fma_f64 v[200:201], v[200:201], -0.5, v[96:97]
	v_add_f64 v[16:17], v[32:33], v[16:17]
	v_fma_f64 v[32:33], v[231:232], s[12:13], v[34:35]
	v_fma_f64 v[34:35], v[231:232], s[2:3], v[34:35]
	v_fma_f64 v[78:79], v[231:232], s[10:11], v[78:79]
	v_fma_f64 v[80:81], v[231:232], s[6:7], v[80:81]
	v_fma_f64 v[209:210], v[219:220], s[6:7], v[209:210]
	v_fma_f64 v[92:93], v[219:220], s[10:11], v[92:93]
	v_fma_f64 v[194:195], v[198:199], s[14:15], v[194:195]
	v_fma_f64 v[213:214], v[0:1], s[12:13], v[196:197]
	v_fma_f64 v[196:197], v[0:1], s[2:3], v[196:197]
	v_fma_f64 v[217:218], v[215:216], s[2:3], v[200:201]
	v_fma_f64 v[200:201], v[215:216], s[12:13], v[200:201]
	v_fma_f64 v[32:33], v[211:212], s[10:11], v[32:33]
	v_fma_f64 v[34:35], v[211:212], s[6:7], v[34:35]
	v_lshlrev_b32_e32 v211, 3, v54
	v_mul_u32_u24_e32 v54, 10, v205
	v_lshlrev_b32_e32 v212, 3, v204
	v_fma_f64 v[213:214], v[215:216], s[10:11], v[213:214]
	v_fma_f64 v[215:216], v[215:216], s[6:7], v[196:197]
	;; [unrolled: 1-line block ×7, first 2 shown]
	v_add_f64 v[16:17], v[70:71], v[108:109]
	v_add_f64 v[70:71], v[128:129], v[96:97]
	v_fma_f64 v[92:93], v[59:60], s[14:15], v[78:79]
	v_fma_f64 v[59:60], v[59:60], s[14:15], v[80:81]
	;; [unrolled: 1-line block ×7, first 2 shown]
	v_mul_f64 v[80:81], v[0:1], s[10:11]
	v_mul_f64 v[96:97], v[192:193], s[12:13]
	v_add_f64 v[16:17], v[16:17], v[112:113]
	v_add_f64 v[70:71], v[116:117], v[70:71]
	v_mul_f64 v[116:117], v[194:195], s[10:11]
	s_delay_alu instid0(VALU_DEP_4) | instskip(NEXT) | instid1(VALU_DEP_4)
	v_fma_f64 v[96:97], v[200:201], s[14:15], v[96:97]
	v_add_f64 v[16:17], v[104:105], v[16:17]
	s_delay_alu instid0(VALU_DEP_4)
	v_add_f64 v[78:79], v[100:101], v[70:71]
	v_fma_f64 v[70:71], v[206:207], s[14:15], v[219:220]
	v_mul_f64 v[100:101], v[196:197], s[12:13]
	v_fma_f64 v[116:117], v[128:129], s[0:1], v[116:117]
	v_cmp_gt_u32_e64 s0, 12, v205
	v_add_f64 v[218:219], v[92:93], v[96:97]
	v_add_f64 v[16:17], v[84:85], v[16:17]
	v_add_f64 v[88:89], v[88:89], v[78:79]
	v_fma_f64 v[78:79], v[198:199], s[16:17], v[80:81]
	v_fma_f64 v[100:101], v[70:71], s[18:19], v[100:101]
	v_add_f64 v[80:81], v[92:93], -v[96:97]
	s_delay_alu instid0(VALU_DEP_4) | instskip(NEXT) | instid1(VALU_DEP_4)
	v_add_f64 v[214:215], v[16:17], v[88:89]
	v_add_f64 v[216:217], v[32:33], v[78:79]
	v_add_f64 v[78:79], v[32:33], -v[78:79]
	v_add_f64 v[18:19], v[16:17], -v[88:89]
	v_add_f64 v[16:17], v[34:35], v[116:117]
	v_add_f64 v[32:33], v[59:60], -v[100:101]
	v_add_f64 v[34:35], v[34:35], -v[116:117]
	v_add_f64 v[220:221], v[59:60], v[100:101]
	v_add_nc_u32_e32 v59, 0, v211
	s_delay_alu instid0(VALU_DEP_1)
	v_lshl_add_u32 v88, v54, 3, v59
	v_mul_i32_i24_e32 v54, 10, v202
	ds_store_b128 v88, v[55:58]
	ds_store_b128 v88, v[142:145] offset:16
	v_mul_i32_i24_e32 v55, 10, v203
	v_lshl_add_u32 v213, v54, 3, v59
	v_lshlrev_b32_e32 v54, 3, v205
	v_lshl_add_u32 v210, v203, 3, v59
	v_lshl_add_u32 v207, v202, 3, v59
	;; [unrolled: 1-line block ×3, first 2 shown]
	ds_store_b128 v88, v[132:135] offset:32
	ds_store_b128 v88, v[138:141] offset:48
	;; [unrolled: 1-line block ×3, first 2 shown]
	v_add3_u32 v209, 0, v54, v211
	v_add_nc_u32_e32 v206, v59, v54
	ds_store_b128 v213, v[150:153]
	ds_store_b128 v213, v[162:165] offset:16
	ds_store_b128 v213, v[154:157] offset:32
	;; [unrolled: 1-line block ×4, first 2 shown]
	ds_store_b128 v89, v[214:217]
	ds_store_b128 v89, v[218:221] offset:16
	ds_store_b128 v89, v[16:19] offset:32
	;; [unrolled: 1-line block ×3, first 2 shown]
	v_add_nc_u32_e32 v214, 0x800, v209
                                        ; implicit-def: $vgpr134_vgpr135
	ds_store_b128 v89, v[32:35] offset:64
	s_waitcnt lgkmcnt(0)
	s_barrier
	buffer_gl0_inv
	ds_load_b64 v[116:117], v206
	ds_load_b64 v[92:93], v210
	;; [unrolled: 1-line block ×3, first 2 shown]
	ds_load_b64 v[120:121], v209 offset:3616
                                        ; implicit-def: $vgpr100_vgpr101
	ds_load_2addr_b64 v[150:153], v209 offset0:60 offset1:76
	ds_load_2addr_b64 v[142:145], v209 offset0:92 offset1:120
	;; [unrolled: 1-line block ×8, first 2 shown]
	ds_load_2addr_b64 v[58:61], v214 offset1:16
	ds_load_2addr_b64 v[154:157], v214 offset0:120 offset1:136
	s_and_saveexec_b32 s1, s0
	s_cbranch_execz .LBB0_15
; %bb.14:
	v_add_nc_u32_e32 v16, 0x400, v209
	ds_load_2addr_b64 v[215:218], v209 offset0:108 offset1:168
	ds_load_2addr_b64 v[132:135], v214 offset0:92 offset1:152
	;; [unrolled: 1-line block ×3, first 2 shown]
	v_add3_u32 v16, 0, v212, v211
	ds_load_b64 v[16:17], v16
	ds_load_b64 v[100:101], v209 offset:3744
	s_waitcnt lgkmcnt(4)
	v_mov_b32_e32 v18, v215
	s_waitcnt lgkmcnt(3)
	v_mov_b32_e32 v34, v132
	;; [unrolled: 2-line block ×3, first 2 shown]
	v_dual_mov_b32 v78, v217 :: v_dual_mov_b32 v79, v218
	v_mov_b32_e32 v19, v216
	v_dual_mov_b32 v35, v133 :: v_dual_mov_b32 v80, v219
	v_mov_b32_e32 v81, v220
	v_mov_b32_e32 v33, v222
.LBB0_15:
	s_or_b32 exec_lo, exec_lo, s1
	v_add_f64 v[132:133], v[44:45], v[10:11]
	v_add_f64 v[215:216], v[6:7], v[30:31]
	;; [unrolled: 1-line block ×7, first 2 shown]
	v_add_f64 v[4:5], v[28:29], -v[4:5]
	v_add_f64 v[28:29], v[76:77], v[122:123]
	v_add_f64 v[76:77], v[22:23], v[36:37]
	;; [unrolled: 1-line block ×4, first 2 shown]
	v_add_f64 v[8:9], v[42:43], -v[8:9]
	v_add_f64 v[98:99], v[130:131], v[98:99]
	v_add_f64 v[20:21], v[20:21], -v[46:47]
	v_add_f64 v[38:39], v[38:39], -v[62:63]
	;; [unrolled: 1-line block ×9, first 2 shown]
	v_mul_f64 v[188:189], v[188:189], s[6:7]
	v_mul_f64 v[176:177], v[176:177], s[14:15]
	;; [unrolled: 1-line block ×8, first 2 shown]
	s_waitcnt lgkmcnt(0)
	s_barrier
	buffer_gl0_inv
	v_fma_f64 v[42:43], v[132:133], -0.5, v[26:27]
	v_fma_f64 v[26:27], v[215:216], -0.5, v[26:27]
	;; [unrolled: 1-line block ×6, first 2 shown]
	v_add_f64 v[44:45], v[44:45], v[225:226]
	v_add_f64 v[132:133], v[48:49], -v[64:65]
	v_add_f64 v[28:29], v[28:29], v[126:127]
	v_add_f64 v[76:77], v[40:41], v[76:77]
	;; [unrolled: 1-line block ×4, first 2 shown]
	v_add_f64 v[40:41], v[64:65], -v[48:49]
	v_add_f64 v[98:99], v[118:119], v[98:99]
	v_add_f64 v[118:119], v[10:11], -v[6:7]
	v_add_f64 v[217:218], v[110:111], -v[114:115]
	;; [unrolled: 1-line block ×5, first 2 shown]
	v_add_f64 v[108:109], v[112:113], v[108:109]
	v_fma_f64 v[66:67], v[66:67], s[16:17], v[188:189]
	v_fma_f64 v[74:75], v[74:75], s[6:7], v[182:183]
	;; [unrolled: 1-line block ×14, first 2 shown]
	v_add_f64 v[10:11], v[10:11], v[44:45]
	v_add_f64 v[14:15], v[14:15], v[28:29]
	;; [unrolled: 1-line block ×11, first 2 shown]
	v_fma_f64 v[68:69], v[8:9], s[6:7], v[122:123]
	v_fma_f64 v[76:77], v[4:5], s[6:7], v[126:127]
	;; [unrolled: 1-line block ×8, first 2 shown]
	v_mul_f64 v[26:27], v[198:199], s[6:7]
	v_fma_f64 v[110:111], v[84:85], s[6:7], v[221:222]
	v_mul_f64 v[42:43], v[200:201], s[2:3]
	v_mul_f64 v[38:39], v[196:197], s[14:15]
	v_fma_f64 v[112:113], v[62:63], s[6:7], v[223:224]
	v_fma_f64 v[62:63], v[62:63], s[10:11], v[72:73]
	v_mul_f64 v[46:47], v[194:195], s[16:17]
	v_fma_f64 v[72:73], v[84:85], s[10:11], v[104:105]
	v_add_f64 v[6:7], v[6:7], v[10:11]
	v_add_f64 v[2:3], v[2:3], v[14:15]
	;; [unrolled: 1-line block ×4, first 2 shown]
	v_fma_f64 v[84:85], v[124:125], s[2:3], v[176:177]
	v_fma_f64 v[104:105], v[170:171], s[2:3], -v[180:181]
	v_add_f64 v[14:15], v[82:83], v[44:45]
	v_add_f64 v[44:45], v[90:91], v[64:65]
	v_fma_f64 v[48:49], v[12:13], s[6:7], -v[178:179]
	v_fma_f64 v[90:91], v[50:51], s[6:7], -v[184:185]
	v_fma_f64 v[82:83], v[24:25], s[14:15], v[190:191]
	v_fma_f64 v[86:87], v[172:173], s[2:3], -v[186:187]
	v_fma_f64 v[52:53], v[108:109], s[14:15], v[68:69]
	v_fma_f64 v[68:69], v[30:31], s[14:15], v[76:77]
	;; [unrolled: 1-line block ×11, first 2 shown]
	v_fma_f64 v[122:123], v[70:71], s[2:3], -v[38:39]
	v_fma_f64 v[112:113], v[106:107], s[14:15], v[112:113]
	v_fma_f64 v[106:107], v[106:107], s[14:15], v[62:63]
	v_fma_f64 v[124:125], v[128:129], s[6:7], -v[46:47]
	v_fma_f64 v[102:103], v[102:103], s[14:15], v[72:73]
	v_add_f64 v[0:1], v[2:3], v[6:7]
	v_add_f64 v[6:7], v[6:7], -v[2:3]
	v_add_f64 v[12:13], v[14:15], v[10:11]
	v_add_f64 v[24:25], v[28:29], v[44:45]
	v_add_f64 v[64:65], v[28:29], -v[44:45]
	v_add_f64 v[22:23], v[10:11], -v[14:15]
	v_add_f64 v[2:3], v[52:53], v[66:67]
	v_add_f64 v[28:29], v[68:69], v[84:85]
	v_add_f64 v[30:31], v[76:77], v[104:105]
	v_add_f64 v[4:5], v[8:9], v[48:49]
	v_add_f64 v[36:37], v[52:53], -v[66:67]
	v_add_f64 v[38:39], v[68:69], -v[84:85]
	v_add_f64 v[40:41], v[76:77], -v[104:105]
	v_add_f64 v[42:43], v[8:9], -v[48:49]
	v_add_f64 v[14:15], v[50:51], v[74:75]
	v_add_f64 v[44:45], v[98:99], v[82:83]
	v_add_f64 v[46:47], v[108:109], v[86:87]
	v_add_f64 v[20:21], v[94:95], v[90:91]
	v_add_f64 v[48:49], v[50:51], -v[74:75]
	v_add_f64 v[50:51], v[98:99], -v[82:83]
	;; [unrolled: 8-line block ×3, first 2 shown]
	v_add_f64 v[66:67], v[106:107], -v[122:123]
	v_add_f64 v[68:69], v[102:103], -v[124:125]
                                        ; implicit-def: $vgpr98_vgpr99
	ds_store_b128 v88, v[0:3]
	ds_store_b128 v88, v[28:31] offset:16
	ds_store_b128 v88, v[4:7] offset:32
	ds_store_b128 v88, v[36:39] offset:48
	ds_store_b128 v88, v[40:43] offset:64
	ds_store_b128 v213, v[12:15]
	ds_store_b128 v213, v[44:47] offset:16
	ds_store_b128 v213, v[20:23] offset:32
	ds_store_b128 v213, v[48:51] offset:48
	ds_store_b128 v213, v[70:73] offset:64
	;; [unrolled: 5-line block ×3, first 2 shown]
	s_waitcnt lgkmcnt(0)
	s_barrier
	buffer_gl0_inv
	ds_load_b64 v[52:53], v206
	ds_load_2addr_b64 v[40:43], v209 offset0:60 offset1:76
	ds_load_2addr_b64 v[36:39], v209 offset0:92 offset1:120
	;; [unrolled: 1-line block ×8, first 2 shown]
	ds_load_2addr_b64 v[4:7], v214 offset1:16
	ds_load_2addr_b64 v[70:73], v214 offset0:120 offset1:136
	ds_load_b64 v[90:91], v210
	ds_load_b64 v[94:95], v207
	ds_load_b64 v[102:103], v209 offset:3616
                                        ; implicit-def: $vgpr14_vgpr15
	s_and_saveexec_b32 s1, s0
	s_cbranch_execz .LBB0_17
; %bb.16:
	v_add_nc_u32_e32 v8, 0x400, v209
	ds_load_2addr_b64 v[20:23], v209 offset0:108 offset1:168
	ds_load_2addr_b64 v[24:27], v8 offset0:100 offset1:160
	v_add_nc_u32_e32 v9, 0x800, v209
	v_add3_u32 v8, 0, v212, v211
	s_waitcnt lgkmcnt(1)
	v_dual_mov_b32 v65, v21 :: v_dual_mov_b32 v64, v20
	ds_load_2addr_b64 v[12:15], v9 offset0:92 offset1:152
	ds_load_b64 v[62:63], v8
	ds_load_b64 v[98:99], v209 offset:3744
	s_waitcnt lgkmcnt(3)
	v_dual_mov_b32 v10, v24 :: v_dual_mov_b32 v11, v25
	v_dual_mov_b32 v67, v27 :: v_dual_mov_b32 v66, v26
	;; [unrolled: 1-line block ×3, first 2 shown]
	s_waitcnt lgkmcnt(2)
	v_dual_mov_b32 v69, v13 :: v_dual_mov_b32 v68, v12
.LBB0_17:
	s_or_b32 exec_lo, exec_lo, s1
	v_and_b32_e32 v20, 0xff, v202
	v_dual_mov_b32 v13, 0 :: v_dual_add_nc_u32 v12, -10, v205
	v_cmp_gt_u32_e64 s1, 10, v205
	s_mov_b32 s2, 0x667f3bcd
	s_delay_alu instid0(VALU_DEP_3)
	v_mul_lo_u16 v20, 0xcd, v20
	s_mov_b32 s3, 0x3fe6a09e
	s_mov_b32 s7, 0xbfe6a09e
	v_cndmask_b32_e64 v126, v12, v205, s1
	s_mov_b32 s6, s2
	v_lshrrev_b16 v129, 11, v20
	s_delay_alu instid0(VALU_DEP_2) | instskip(NEXT) | instid1(VALU_DEP_2)
	v_mul_i32_i24_e32 v12, 7, v126
	v_mul_lo_u16 v20, v129, 10
	v_mul_lo_u16 v129, 0x50, v129
	s_delay_alu instid0(VALU_DEP_3) | instskip(NEXT) | instid1(VALU_DEP_3)
	v_lshlrev_b64 v[12:13], 4, v[12:13]
	v_sub_nc_u16 v128, v202, v20
	s_delay_alu instid0(VALU_DEP_2) | instskip(NEXT) | instid1(VALU_DEP_2)
	v_add_co_u32 v12, s1, s4, v12
	v_mul_lo_u16 v20, v128, 7
	s_delay_alu instid0(VALU_DEP_4) | instskip(SKIP_2) | instid1(VALU_DEP_4)
	v_add_co_ci_u32_e64 v13, s1, s5, v13, s1
	v_cmp_lt_u32_e64 s1, 9, v205
	v_or_b32_e32 v128, v129, v128
	v_and_b32_e32 v20, 0xff, v20
	global_load_b128 v[104:107], v[12:13], off offset:32
	v_and_b32_e32 v128, 0xff, v128
	v_lshlrev_b32_e32 v24, 4, v20
	v_and_b32_e32 v20, 0xff, v203
	s_clause 0x3
	global_load_b128 v[108:111], v24, s[4:5] offset:32
	global_load_b128 v[112:115], v[12:13], off offset:96
	global_load_b128 v[122:125], v24, s[4:5] offset:96
	global_load_b128 v[170:173], v24, s[4:5] offset:16
	v_mul_lo_u16 v20, 0xcd, v20
	v_lshlrev_b32_e32 v128, 3, v128
	s_delay_alu instid0(VALU_DEP_2) | instskip(NEXT) | instid1(VALU_DEP_1)
	v_lshrrev_b16 v131, 11, v20
	v_mul_lo_u16 v20, v131, 10
	v_and_b32_e32 v131, 0xffff, v131
	s_delay_alu instid0(VALU_DEP_2) | instskip(NEXT) | instid1(VALU_DEP_2)
	v_sub_nc_u16 v20, v203, v20
	v_mul_u32_u24_e32 v129, 0x50, v131
	s_delay_alu instid0(VALU_DEP_2) | instskip(NEXT) | instid1(VALU_DEP_1)
	v_and_b32_e32 v130, 0xff, v20
	v_mul_u32_u24_e32 v20, 7, v130
	s_delay_alu instid0(VALU_DEP_3) | instskip(NEXT) | instid1(VALU_DEP_2)
	v_or_b32_e32 v130, v129, v130
	v_lshlrev_b32_e32 v118, 4, v20
	s_clause 0xf
	global_load_b128 v[176:179], v118, s[4:5] offset:16
	global_load_b128 v[180:183], v24, s[4:5] offset:80
	;; [unrolled: 1-line block ×4, first 2 shown]
	global_load_b128 v[192:195], v[12:13], off offset:16
	global_load_b128 v[196:199], v[12:13], off offset:80
	global_load_b128 v[213:216], v[12:13], off
	global_load_b128 v[217:220], v24, s[4:5]
	global_load_b128 v[221:224], v[12:13], off offset:64
	global_load_b128 v[225:228], v24, s[4:5] offset:64
	global_load_b128 v[229:232], v118, s[4:5]
	global_load_b128 v[20:23], v[12:13], off offset:48
	global_load_b128 v[24:27], v24, s[4:5] offset:48
	global_load_b128 v[233:236], v118, s[4:5] offset:32
	;; [unrolled: 1-line block ×4, first 2 shown]
	v_and_b32_e32 v12, 0xff, v204
	s_delay_alu instid0(VALU_DEP_1) | instskip(NEXT) | instid1(VALU_DEP_1)
	v_mul_lo_u16 v118, 0xcd, v12
	v_lshrrev_b16 v132, 11, v118
	s_delay_alu instid0(VALU_DEP_1) | instskip(NEXT) | instid1(VALU_DEP_1)
	v_mul_lo_u16 v118, v132, 10
	v_sub_nc_u16 v127, v204, v118
	s_delay_alu instid0(VALU_DEP_1) | instskip(NEXT) | instid1(VALU_DEP_1)
	v_and_b32_e32 v127, 0xff, v127
	v_mul_u32_u24_e32 v133, 7, v127
	s_delay_alu instid0(VALU_DEP_1)
	v_lshlrev_b32_e32 v133, 4, v133
	global_load_b128 v[241:244], v133, s[4:5]
	s_waitcnt vmcnt(21) lgkmcnt(10)
	v_mul_f64 v[12:13], v[86:87], v[106:107]
	v_mul_f64 v[106:107], v[166:167], v[106:107]
	s_waitcnt vmcnt(20)
	v_mul_f64 v[118:119], v[88:89], v[110:111]
	v_mul_f64 v[110:111], v[168:169], v[110:111]
	s_delay_alu instid0(VALU_DEP_4) | instskip(NEXT) | instid1(VALU_DEP_4)
	v_fma_f64 v[136:137], v[166:167], v[104:105], v[12:13]
	v_fma_f64 v[166:167], v[86:87], v[104:105], -v[106:107]
	global_load_b128 v[104:107], v133, s[4:5] offset:32
	s_waitcnt vmcnt(20) lgkmcnt(6)
	v_mul_f64 v[12:13], v[82:83], v[114:115]
	v_mul_f64 v[114:115], v[162:163], v[114:115]
	v_fma_f64 v[118:119], v[168:169], v[108:109], v[118:119]
	v_fma_f64 v[168:169], v[88:89], v[108:109], -v[110:111]
	s_clause 0x1
	global_load_b128 v[86:89], v133, s[4:5] offset:64
	global_load_b128 v[108:111], v133, s[4:5] offset:96
	v_fma_f64 v[162:163], v[162:163], v[112:113], v[12:13]
	s_waitcnt vmcnt(21)
	v_mul_f64 v[12:13], v[84:85], v[124:125]
	v_fma_f64 v[200:201], v[82:83], v[112:113], -v[114:115]
	v_mul_f64 v[82:83], v[164:165], v[124:125]
	s_delay_alu instid0(VALU_DEP_3) | instskip(SKIP_3) | instid1(VALU_DEP_4)
	v_fma_f64 v[124:125], v[164:165], v[122:123], v[12:13]
	s_waitcnt vmcnt(20) lgkmcnt(5)
	v_mul_f64 v[12:13], v[74:75], v[172:173]
	v_mul_f64 v[164:165], v[158:159], v[172:173]
	v_fma_f64 v[122:123], v[84:85], v[122:123], -v[82:83]
	s_clause 0x1
	global_load_b128 v[82:85], v133, s[4:5] offset:16
	global_load_b128 v[112:115], v133, s[4:5] offset:80
	s_waitcnt vmcnt(20)
	v_mul_f64 v[172:173], v[154:155], v[182:183]
	v_add_f64 v[124:125], v[118:119], -v[124:125]
	v_fma_f64 v[158:159], v[158:159], v[170:171], v[12:13]
	v_fma_f64 v[12:13], v[74:75], v[170:171], -v[164:165]
	v_mul_f64 v[74:75], v[76:77], v[178:179]
	v_mul_f64 v[164:165], v[160:161], v[178:179]
	s_waitcnt lgkmcnt(3)
	v_mul_f64 v[170:171], v[70:71], v[182:183]
	s_waitcnt vmcnt(18)
	v_mul_f64 v[178:179], v[120:121], v[190:191]
	s_waitcnt vmcnt(16)
	v_mul_f64 v[182:183], v[140:141], v[198:199]
	v_add_f64 v[122:123], v[168:169], -v[122:123]
	v_fma_f64 v[118:119], v[118:119], 2.0, -v[124:125]
	v_fma_f64 v[160:161], v[160:161], v[176:177], v[74:75]
	v_fma_f64 v[74:75], v[76:77], v[176:177], -v[164:165]
	v_mul_f64 v[76:77], v[72:73], v[186:187]
	v_mul_f64 v[164:165], v[156:157], v[186:187]
	s_waitcnt lgkmcnt(0)
	v_mul_f64 v[176:177], v[102:103], v[190:191]
	v_fma_f64 v[154:155], v[154:155], v[180:181], v[170:171]
	v_fma_f64 v[170:171], v[70:71], v[180:181], -v[172:173]
	v_mul_f64 v[172:173], v[38:39], v[194:195]
	v_mul_f64 v[180:181], v[144:145], v[194:195]
	s_waitcnt vmcnt(14)
	v_mul_f64 v[186:187], v[42:43], v[219:220]
	s_waitcnt vmcnt(13)
	;; [unrolled: 2-line block ×3, first 2 shown]
	v_mul_f64 v[194:195], v[50:51], v[227:228]
	v_fma_f64 v[102:103], v[102:103], v[188:189], -v[178:179]
	s_waitcnt vmcnt(10)
	v_mul_f64 v[178:179], v[2:3], v[22:23]
	v_fma_f64 v[76:77], v[156:157], v[184:185], v[76:77]
	v_mul_f64 v[156:157], v[46:47], v[198:199]
	v_fma_f64 v[164:165], v[72:73], v[184:185], -v[164:165]
	v_mul_f64 v[184:185], v[40:41], v[215:216]
	global_load_b128 v[70:73], v133, s[4:5] offset:48
	v_fma_f64 v[120:121], v[120:121], v[188:189], v[176:177]
	v_mul_f64 v[176:177], v[36:37], v[231:232]
	v_mul_f64 v[188:189], v[150:151], v[215:216]
	v_fma_f64 v[144:145], v[144:145], v[192:193], v[172:173]
	v_fma_f64 v[38:39], v[38:39], v[192:193], -v[180:181]
	v_fma_f64 v[46:47], v[46:47], v[196:197], -v[182:183]
	v_mul_f64 v[182:183], v[152:153], v[219:220]
	v_fma_f64 v[152:153], v[152:153], v[217:218], v[186:187]
	s_waitcnt vmcnt(7)
	v_mul_f64 v[186:187], v[44:45], v[239:240]
	v_mul_f64 v[192:193], v[54:55], v[235:236]
	;; [unrolled: 1-line block ×4, first 2 shown]
	v_fma_f64 v[146:147], v[146:147], v[221:222], v[190:191]
	v_fma_f64 v[190:191], v[148:149], v[225:226], v[194:195]
	v_mul_f64 v[148:149], v[148:149], v[227:228]
	v_mul_f64 v[194:195], v[138:139], v[239:240]
	v_fma_f64 v[178:179], v[56:57], v[20:21], v[178:179]
	s_waitcnt vmcnt(0)
	s_barrier
	buffer_gl0_inv
	v_fma_f64 v[140:141], v[140:141], v[196:197], v[156:157]
	v_mul_f64 v[156:157], v[0:1], v[235:236]
	v_fma_f64 v[150:151], v[150:151], v[213:214], v[184:185]
	v_mul_f64 v[184:185], v[6:7], v[30:31]
	;; [unrolled: 2-line block ×3, first 2 shown]
	v_fma_f64 v[188:189], v[40:41], v[213:214], -v[188:189]
	v_add_f64 v[40:41], v[158:159], -v[154:155]
	v_fma_f64 v[138:139], v[138:139], v[237:238], v[186:187]
	v_mul_f64 v[186:187], v[64:65], v[243:244]
	v_fma_f64 v[180:181], v[58:59], v[24:25], v[180:181]
	v_fma_f64 v[48:49], v[48:49], v[221:222], -v[172:173]
	v_fma_f64 v[172:173], v[42:43], v[217:218], -v[182:183]
	v_add_f64 v[154:155], v[152:153], -v[190:191]
	v_fma_f64 v[50:51], v[50:51], v[225:226], -v[148:149]
	v_fma_f64 v[148:149], v[44:45], v[237:238], -v[194:195]
	v_add_f64 v[178:179], v[116:117], -v[178:179]
	v_add_f64 v[42:43], v[12:13], -v[170:171]
	;; [unrolled: 1-line block ×3, first 2 shown]
	v_fma_f64 v[54:55], v[54:55], v[233:234], v[156:157]
	v_fma_f64 v[156:157], v[0:1], v[233:234], -v[192:193]
	v_fma_f64 v[184:185], v[60:61], v[28:29], v[184:185]
	v_mul_f64 v[192:193], v[18:19], v[243:244]
	v_add_f64 v[0:1], v[144:145], -v[140:141]
	v_fma_f64 v[142:143], v[36:37], v[229:230], -v[142:143]
	v_add_f64 v[140:141], v[150:151], -v[146:147]
	v_add_f64 v[146:147], v[136:137], -v[162:163]
	;; [unrolled: 1-line block ×6, first 2 shown]
	v_fma_f64 v[182:183], v[18:19], v[241:242], v[186:187]
	v_add_f64 v[180:181], v[96:97], -v[180:181]
	v_fma_f64 v[152:153], v[152:153], 2.0, -v[154:155]
	v_add_f64 v[190:191], v[154:155], v[122:123]
	v_fma_f64 v[116:117], v[116:117], 2.0, -v[178:179]
	v_fma_f64 v[160:161], v[160:161], 2.0, -v[44:45]
	v_add_f64 v[120:121], v[54:55], -v[120:121]
	v_add_f64 v[102:103], v[156:157], -v[102:103]
	v_add_f64 v[170:171], v[92:93], -v[184:185]
	v_fma_f64 v[184:185], v[64:65], v[241:242], -v[192:193]
	v_add_f64 v[64:65], v[188:189], -v[48:49]
	v_add_f64 v[148:149], v[142:143], -v[148:149]
	v_mul_f64 v[196:197], v[10:11], v[106:107]
	v_mul_f64 v[106:107], v[80:81], v[106:107]
	v_fma_f64 v[18:19], v[136:137], 2.0, -v[146:147]
	v_add_f64 v[136:137], v[178:179], v[36:37]
	v_fma_f64 v[176:177], v[176:177], 2.0, -v[76:77]
	v_mul_f64 v[138:139], v[68:69], v[88:89]
	v_mul_f64 v[88:89], v[34:35], v[88:89]
	v_mul_f64 v[164:165], v[100:101], v[110:111]
	v_mul_f64 v[110:111], v[98:99], v[110:111]
	v_fma_f64 v[186:187], v[96:97], 2.0, -v[180:181]
	v_fma_f64 v[96:97], v[158:159], 2.0, -v[40:41]
	v_add_f64 v[158:159], v[180:181], v[42:43]
	v_fma_f64 v[54:55], v[54:55], 2.0, -v[120:121]
	v_add_f64 v[194:195], v[76:77], v[102:103]
	;; [unrolled: 2-line block ×3, first 2 shown]
	v_fma_f64 v[102:103], v[156:157], 2.0, -v[102:103]
	v_fma_f64 v[48:49], v[142:143], 2.0, -v[148:149]
	v_add_f64 v[120:121], v[148:149], -v[120:121]
	v_fma_f64 v[80:81], v[80:81], v[104:105], v[196:197]
	v_fma_f64 v[104:105], v[10:11], v[104:105], -v[106:107]
	v_add_f64 v[106:107], v[172:173], -v[50:51]
	v_fma_f64 v[10:11], v[144:145], 2.0, -v[0:1]
	v_fma_f64 v[144:145], v[150:151], 2.0, -v[140:141]
	v_add_f64 v[150:151], v[140:141], v[162:163]
	v_fma_f64 v[138:139], v[34:35], v[86:87], v[138:139]
	v_fma_f64 v[86:87], v[68:69], v[86:87], -v[88:89]
	v_fma_f64 v[88:89], v[98:99], v[108:109], -v[164:165]
	v_fma_f64 v[98:99], v[100:101], v[108:109], v[110:111]
	v_fma_f64 v[50:51], v[188:189], 2.0, -v[64:65]
	v_fma_f64 v[100:101], v[166:167], 2.0, -v[162:163]
	v_fma_f64 v[110:111], v[168:169], 2.0, -v[122:123]
	v_add_f64 v[34:35], v[152:153], -v[118:119]
	v_fma_f64 v[118:119], v[154:155], 2.0, -v[190:191]
	v_add_f64 v[108:109], v[64:65], -v[146:147]
	v_fma_f64 v[156:157], v[178:179], 2.0, -v[136:137]
	;; [unrolled: 2-line block ×3, first 2 shown]
	v_fma_f64 v[166:167], v[76:77], 2.0, -v[194:195]
	v_add_f64 v[154:155], v[92:93], -v[160:161]
	v_fma_f64 v[160:161], v[170:171], 2.0, -v[192:193]
	v_add_f64 v[96:97], v[48:49], -v[102:103]
	v_fma_f64 v[148:149], v[148:149], 2.0, -v[120:121]
	v_fma_f64 v[68:69], v[172:173], 2.0, -v[106:107]
	v_add_f64 v[142:143], v[116:117], -v[10:11]
	v_add_f64 v[10:11], v[144:145], -v[18:19]
	;; [unrolled: 1-line block ×7, first 2 shown]
	v_fma_f64 v[140:141], v[140:141], 2.0, -v[150:151]
	v_add_f64 v[146:147], v[106:107], -v[124:125]
	v_mul_f64 v[54:55], v[8:9], v[84:85]
	v_mul_f64 v[84:85], v[78:79], v[84:85]
	;; [unrolled: 1-line block ×4, first 2 shown]
	v_add_f64 v[98:99], v[50:51], -v[100:101]
	v_fma_f64 v[170:171], v[150:151], s[2:3], v[136:137]
	v_fma_f64 v[168:169], v[64:65], 2.0, -v[108:109]
	v_fma_f64 v[92:93], v[92:93], 2.0, -v[154:155]
	v_fma_f64 v[180:181], v[166:167], s[6:7], v[160:161]
	v_add_f64 v[200:201], v[154:155], v[96:97]
	v_add_f64 v[100:101], v[68:69], -v[110:111]
	v_fma_f64 v[178:179], v[116:117], 2.0, -v[142:143]
	v_fma_f64 v[102:103], v[144:145], 2.0, -v[10:11]
	;; [unrolled: 1-line block ×5, first 2 shown]
	v_add_f64 v[188:189], v[76:77], v[88:89]
	v_add_f64 v[196:197], v[86:87], -v[138:139]
	v_fma_f64 v[110:111], v[140:141], s[6:7], v[156:157]
	v_fma_f64 v[172:173], v[106:107], 2.0, -v[146:147]
	v_fma_f64 v[106:107], v[190:191], s[2:3], v[158:159]
	v_fma_f64 v[152:153], v[118:119], s[6:7], v[164:165]
	;; [unrolled: 1-line block ×4, first 2 shown]
	v_fma_f64 v[64:65], v[8:9], v[82:83], -v[84:85]
	v_fma_f64 v[8:9], v[134:135], v[112:113], v[122:123]
	v_fma_f64 v[14:15], v[14:15], v[112:113], -v[114:115]
	v_fma_f64 v[122:123], v[182:183], 2.0, -v[76:77]
	v_fma_f64 v[54:55], v[184:185], 2.0, -v[86:87]
	;; [unrolled: 1-line block ×4, first 2 shown]
	v_add_f64 v[133:134], v[142:143], v[98:99]
	v_fma_f64 v[138:139], v[108:109], s[2:3], v[170:171]
	v_mul_f64 v[114:115], v[108:109], s[2:3]
	v_mul_f64 v[112:113], v[146:147], s[2:3]
	;; [unrolled: 1-line block ×4, first 2 shown]
	v_fma_f64 v[180:181], v[148:149], s[2:3], v[180:181]
	v_fma_f64 v[154:155], v[154:155], 2.0, -v[200:201]
	v_add_f64 v[170:171], v[162:163], v[100:101]
	v_add_f64 v[184:185], v[178:179], -v[102:103]
	v_add_f64 v[176:177], v[92:93], -v[176:177]
	v_mul_f64 v[102:103], v[150:151], s[2:3]
	v_add_f64 v[213:214], v[144:145], -v[116:117]
	v_fma_f64 v[88:89], v[76:77], 2.0, -v[188:189]
	v_fma_f64 v[215:216], v[86:87], 2.0, -v[196:197]
	v_fma_f64 v[198:199], v[168:169], s[2:3], v[110:111]
	v_mul_f64 v[110:111], v[120:121], s[2:3]
	v_fma_f64 v[182:183], v[146:147], s[2:3], v[106:107]
	v_fma_f64 v[152:153], v[172:173], s[2:3], v[152:153]
	;; [unrolled: 1-line block ×3, first 2 shown]
	v_mul_f64 v[106:107], v[140:141], s[2:3]
	v_mul_f64 v[116:117], v[168:169], s[2:3]
	v_add_f64 v[80:81], v[124:125], -v[8:9]
	v_add_f64 v[84:85], v[64:65], -v[14:15]
	v_mul_f64 v[14:15], v[190:191], s[2:3]
	v_mul_f64 v[8:9], v[194:195], s[2:3]
	v_add_f64 v[76:77], v[122:123], -v[78:79]
	v_add_f64 v[86:87], v[54:55], -v[82:83]
	v_mul_f64 v[78:79], v[188:189], s[2:3]
	v_mul_f64 v[82:83], v[196:197], s[2:3]
	;; [unrolled: 1-line block ×3, first 2 shown]
	v_fma_f64 v[140:141], v[142:143], 2.0, -v[133:134]
	v_mul_f64 v[120:121], v[148:149], s[2:3]
	v_fma_f64 v[135:136], v[136:137], 2.0, -v[138:139]
	v_cndmask_b32_e64 v137, 0, 0x50, s1
	v_fma_f64 v[160:161], v[160:161], 2.0, -v[180:181]
	s_delay_alu instid0(VALU_DEP_2) | instskip(SKIP_1) | instid1(VALU_DEP_2)
	v_or_b32_e32 v126, v137, v126
	v_fma_f64 v[142:143], v[162:163], 2.0, -v[170:171]
	v_lshlrev_b32_e32 v131, 3, v126
	v_fma_f64 v[150:151], v[178:179], 2.0, -v[184:185]
	v_fma_f64 v[162:163], v[92:93], 2.0, -v[176:177]
	v_and_b32_e32 v126, 0xffff, v132
	v_fma_f64 v[144:145], v[144:145], 2.0, -v[213:214]
	v_mul_f64 v[88:89], v[88:89], s[2:3]
	v_mul_f64 v[92:93], v[215:216], s[2:3]
	v_fma_f64 v[156:157], v[156:157], 2.0, -v[198:199]
	v_add3_u32 v129, 0, v131, v211
	v_fma_f64 v[146:147], v[158:159], 2.0, -v[182:183]
	v_fma_f64 v[158:159], v[164:165], 2.0, -v[152:153]
	;; [unrolled: 1-line block ×3, first 2 shown]
	v_lshlrev_b32_e32 v131, 3, v130
	v_add3_u32 v130, 0, v128, v211
	s_delay_alu instid0(VALU_DEP_2)
	v_add3_u32 v128, 0, v131, v211
	ds_store_2addr_b64 v129, v[133:134], v[138:139] offset0:60 offset1:70
	ds_store_2addr_b64 v129, v[140:141], v[135:136] offset0:20 offset1:30
	ds_store_2addr_b64 v129, v[184:185], v[198:199] offset0:40 offset1:50
	ds_store_2addr_b64 v129, v[150:151], v[156:157] offset1:10
	ds_store_2addr_b64 v130, v[142:143], v[146:147] offset0:20 offset1:30
	ds_store_2addr_b64 v130, v[213:214], v[152:153] offset0:40 offset1:50
	;; [unrolled: 1-line block ×3, first 2 shown]
	ds_store_2addr_b64 v130, v[144:145], v[158:159] offset1:10
	ds_store_2addr_b64 v128, v[162:163], v[160:161] offset1:10
	ds_store_2addr_b64 v128, v[154:155], v[164:165] offset0:20 offset1:30
	ds_store_2addr_b64 v128, v[176:177], v[180:181] offset0:40 offset1:50
	;; [unrolled: 1-line block ×3, first 2 shown]
	s_and_saveexec_b32 s1, s0
	s_cbranch_execz .LBB0_19
; %bb.18:
	v_mul_f64 v[131:132], v[66:67], v[72:73]
	v_fma_f64 v[124:125], v[124:125], 2.0, -v[80:81]
	v_fma_f64 v[122:123], v[122:123], 2.0, -v[76:77]
	v_mul_u32_u24_e32 v141, 0x50, v126
	s_delay_alu instid0(VALU_DEP_1) | instskip(NEXT) | instid1(VALU_DEP_1)
	v_or_b32_e32 v141, v141, v127
	v_lshlrev_b32_e32 v141, 3, v141
	s_delay_alu instid0(VALU_DEP_1) | instskip(SKIP_1) | instid1(VALU_DEP_1)
	v_add3_u32 v141, 0, v141, v211
	v_fma_f64 v[131:132], v[32:33], v[70:71], v[131:132]
	v_add_f64 v[131:132], v[16:17], -v[131:132]
	s_delay_alu instid0(VALU_DEP_1) | instskip(SKIP_1) | instid1(VALU_DEP_2)
	v_add_f64 v[133:134], v[131:132], v[84:85]
	v_fma_f64 v[16:17], v[16:17], 2.0, -v[131:132]
	v_fma_f64 v[131:132], v[131:132], 2.0, -v[133:134]
	s_delay_alu instid0(VALU_DEP_2) | instskip(SKIP_1) | instid1(VALU_DEP_3)
	v_add_f64 v[124:125], v[16:17], -v[124:125]
	v_add_f64 v[135:136], v[133:134], v[78:79]
	v_add_f64 v[137:138], v[131:132], -v[88:89]
	s_delay_alu instid0(VALU_DEP_3) | instskip(NEXT) | instid1(VALU_DEP_3)
	v_fma_f64 v[16:17], v[16:17], 2.0, -v[124:125]
	v_add_f64 v[135:136], v[82:83], v[135:136]
	v_add_f64 v[139:140], v[124:125], v[86:87]
	s_delay_alu instid0(VALU_DEP_4) | instskip(NEXT) | instid1(VALU_DEP_4)
	v_add_f64 v[137:138], v[92:93], v[137:138]
	v_add_f64 v[122:123], v[16:17], -v[122:123]
	s_delay_alu instid0(VALU_DEP_4) | instskip(NEXT) | instid1(VALU_DEP_4)
	v_fma_f64 v[133:134], v[133:134], 2.0, -v[135:136]
	v_fma_f64 v[124:125], v[124:125], 2.0, -v[139:140]
	s_delay_alu instid0(VALU_DEP_4) | instskip(NEXT) | instid1(VALU_DEP_4)
	v_fma_f64 v[131:132], v[131:132], 2.0, -v[137:138]
	v_fma_f64 v[16:17], v[16:17], 2.0, -v[122:123]
	ds_store_2addr_b64 v141, v[124:125], v[133:134] offset0:20 offset1:30
	ds_store_2addr_b64 v141, v[122:123], v[137:138] offset0:40 offset1:50
	ds_store_2addr_b64 v141, v[16:17], v[131:132] offset1:10
	ds_store_2addr_b64 v141, v[139:140], v[135:136] offset0:60 offset1:70
.LBB0_19:
	s_or_b32 exec_lo, exec_lo, s1
	v_mul_f64 v[16:17], v[56:57], v[22:23]
	v_mul_f64 v[22:23], v[58:59], v[26:27]
	;; [unrolled: 1-line block ×3, first 2 shown]
	v_fma_f64 v[12:13], v[12:13], 2.0, -v[42:43]
	v_fma_f64 v[48:49], v[48:49], 2.0, -v[96:97]
	s_waitcnt lgkmcnt(0)
	s_barrier
	buffer_gl0_inv
	v_add3_u32 v176, 0, v212, v211
	v_fma_f64 v[2:3], v[2:3], v[20:21], -v[16:17]
	v_fma_f64 v[4:5], v[4:5], v[24:25], -v[22:23]
	;; [unrolled: 1-line block ×3, first 2 shown]
	v_fma_f64 v[16:17], v[38:39], 2.0, -v[36:37]
	v_fma_f64 v[26:27], v[74:75], 2.0, -v[46:47]
	;; [unrolled: 1-line block ×3, first 2 shown]
	v_add_f64 v[2:3], v[52:53], -v[2:3]
	v_add_f64 v[4:5], v[94:95], -v[4:5]
	;; [unrolled: 1-line block ×3, first 2 shown]
	s_delay_alu instid0(VALU_DEP_3) | instskip(SKIP_1) | instid1(VALU_DEP_4)
	v_fma_f64 v[20:21], v[52:53], 2.0, -v[2:3]
	v_add_f64 v[0:1], v[2:3], -v[0:1]
	v_fma_f64 v[22:23], v[94:95], 2.0, -v[4:5]
	v_add_f64 v[24:25], v[4:5], -v[40:41]
	;; [unrolled: 2-line block ×6, first 2 shown]
	v_fma_f64 v[6:7], v[6:7], 2.0, -v[30:31]
	v_add_f64 v[38:39], v[0:1], v[114:115]
	v_add_f64 v[46:47], v[24:25], v[112:113]
	;; [unrolled: 1-line block ×3, first 2 shown]
	v_fma_f64 v[20:21], v[20:21], 2.0, -v[16:17]
	v_add_f64 v[42:43], v[2:3], -v[116:117]
	v_fma_f64 v[22:23], v[22:23], 2.0, -v[12:13]
	v_add_f64 v[44:45], v[4:5], -v[118:119]
	;; [unrolled: 2-line block ×3, first 2 shown]
	v_add_f64 v[56:57], v[16:17], -v[10:11]
	v_add_f64 v[58:59], v[38:39], -v[102:103]
	;; [unrolled: 1-line block ×5, first 2 shown]
	v_add_nc_u32_e32 v38, 0x800, v209
	v_add_f64 v[68:69], v[20:21], -v[36:37]
	v_add_f64 v[74:75], v[42:43], -v[106:107]
	;; [unrolled: 1-line block ×7, first 2 shown]
	v_fma_f64 v[106:107], v[16:17], 2.0, -v[56:57]
	v_fma_f64 v[108:109], v[0:1], 2.0, -v[58:59]
	;; [unrolled: 1-line block ×12, first 2 shown]
	ds_load_2addr_b64 v[0:3], v209 offset0:64 offset1:80
	ds_load_2addr_b64 v[4:7], v209 offset0:160 offset1:176
	;; [unrolled: 1-line block ×8, first 2 shown]
	ds_load_2addr_b64 v[12:15], v38 offset1:16
	ds_load_2addr_b64 v[20:23], v38 offset0:160 offset1:176
	ds_load_2addr_b64 v[28:31], v38 offset0:96 offset1:112
	ds_load_b64 v[200:201], v206
	ds_load_b64 v[194:195], v207
	;; [unrolled: 1-line block ×4, first 2 shown]
	ds_load_2addr_b64 v[42:45], v38 offset0:32 offset1:48
	ds_load_2addr_b64 v[38:41], v38 offset0:192 offset1:208
	s_waitcnt lgkmcnt(0)
	s_barrier
	buffer_gl0_inv
	ds_store_2addr_b64 v129, v[56:57], v[58:59] offset0:60 offset1:70
	ds_store_2addr_b64 v129, v[106:107], v[108:109] offset0:20 offset1:30
	;; [unrolled: 1-line block ×3, first 2 shown]
	ds_store_2addr_b64 v129, v[112:113], v[114:115] offset1:10
	ds_store_2addr_b64 v130, v[116:117], v[118:119] offset1:10
	ds_store_2addr_b64 v130, v[110:111], v[120:121] offset0:20 offset1:30
	ds_store_2addr_b64 v130, v[90:91], v[94:95] offset0:40 offset1:50
	;; [unrolled: 1-line block ×3, first 2 shown]
	ds_store_2addr_b64 v128, v[124:125], v[131:132] offset1:10
	ds_store_2addr_b64 v128, v[122:123], v[133:134] offset0:20 offset1:30
	ds_store_2addr_b64 v128, v[100:101], v[102:103] offset0:40 offset1:50
	;; [unrolled: 1-line block ×3, first 2 shown]
	s_and_saveexec_b32 s1, s0
	s_cbranch_execz .LBB0_21
; %bb.20:
	v_mul_f64 v[32:33], v[32:33], v[72:73]
	v_fma_f64 v[56:57], v[64:65], 2.0, -v[84:85]
	v_fma_f64 v[54:55], v[54:55], 2.0, -v[86:87]
	v_mul_u32_u24_e32 v68, 0x50, v126
	s_delay_alu instid0(VALU_DEP_1) | instskip(NEXT) | instid1(VALU_DEP_1)
	v_or_b32_e32 v68, v68, v127
	v_lshlrev_b32_e32 v68, 3, v68
	s_delay_alu instid0(VALU_DEP_1) | instskip(SKIP_1) | instid1(VALU_DEP_1)
	v_add3_u32 v68, 0, v68, v211
	v_fma_f64 v[32:33], v[66:67], v[70:71], -v[32:33]
	v_add_f64 v[32:33], v[62:63], -v[32:33]
	s_delay_alu instid0(VALU_DEP_1) | instskip(SKIP_1) | instid1(VALU_DEP_2)
	v_fma_f64 v[58:59], v[62:63], 2.0, -v[32:33]
	v_add_f64 v[60:61], v[32:33], -v[80:81]
	v_add_f64 v[56:57], v[58:59], -v[56:57]
	s_delay_alu instid0(VALU_DEP_2) | instskip(SKIP_1) | instid1(VALU_DEP_3)
	v_fma_f64 v[32:33], v[32:33], 2.0, -v[60:61]
	v_add_f64 v[62:63], v[60:61], v[82:83]
	v_fma_f64 v[58:59], v[58:59], 2.0, -v[56:57]
	s_delay_alu instid0(VALU_DEP_3) | instskip(SKIP_1) | instid1(VALU_DEP_4)
	v_add_f64 v[64:65], v[32:33], -v[92:93]
	v_add_f64 v[66:67], v[56:57], -v[76:77]
	v_add_f64 v[62:63], v[62:63], -v[78:79]
	s_delay_alu instid0(VALU_DEP_4) | instskip(NEXT) | instid1(VALU_DEP_4)
	v_add_f64 v[54:55], v[58:59], -v[54:55]
	v_add_f64 v[64:65], v[64:65], -v[88:89]
	s_delay_alu instid0(VALU_DEP_4) | instskip(NEXT) | instid1(VALU_DEP_4)
	v_fma_f64 v[56:57], v[56:57], 2.0, -v[66:67]
	v_fma_f64 v[60:61], v[60:61], 2.0, -v[62:63]
	s_delay_alu instid0(VALU_DEP_4) | instskip(NEXT) | instid1(VALU_DEP_4)
	v_fma_f64 v[58:59], v[58:59], 2.0, -v[54:55]
	v_fma_f64 v[32:33], v[32:33], 2.0, -v[64:65]
	ds_store_2addr_b64 v68, v[56:57], v[60:61] offset0:20 offset1:30
	ds_store_2addr_b64 v68, v[54:55], v[64:65] offset0:40 offset1:50
	ds_store_2addr_b64 v68, v[58:59], v[32:33] offset1:10
	ds_store_2addr_b64 v68, v[66:67], v[62:63] offset0:60 offset1:70
.LBB0_21:
	s_or_b32 exec_lo, exec_lo, s1
	s_waitcnt lgkmcnt(0)
	s_barrier
	buffer_gl0_inv
	s_and_saveexec_b32 s0, vcc_lo
	s_cbranch_execz .LBB0_23
; %bb.22:
	v_mul_u32_u24_e32 v32, 5, v205
	v_or_b32_e32 v33, 64, v205
	v_or_b32_e32 v235, 0x1500, v208
	;; [unrolled: 1-line block ×3, first 2 shown]
	s_mov_b32 s0, 0xe8584caa
	v_lshlrev_b32_e32 v56, 4, v32
	v_mul_u32_u24_e32 v32, 5, v33
	v_mov_b32_e32 v33, 0
	s_mov_b32 s1, 0xbfebb67a
	s_mov_b32 s3, 0x3febb67a
	global_load_b128 v[146:149], v56, s[4:5] offset:1152
	v_lshlrev_b32_e32 v57, 4, v32
	v_mul_i32_i24_e32 v32, 5, v204
	s_mov_b32 s2, s0
	v_or_b32_e32 v237, 0x1100, v208
	s_clause 0x1
	global_load_b128 v[102:105], v57, s[4:5] offset:1136
	global_load_b128 v[154:157], v56, s[4:5] offset:1184
	v_lshlrev_b64 v[54:55], 4, v[32:33]
	global_load_b128 v[150:153], v57, s[4:5] offset:1168
	v_mul_i32_i24_e32 v32, 5, v203
	v_or_b32_e32 v238, 0x1600, v208
	v_or_b32_e32 v239, 0x1b00, v208
	;; [unrolled: 1-line block ×3, first 2 shown]
	v_add_co_u32 v54, vcc_lo, s4, v54
	v_add_co_ci_u32_e32 v55, vcc_lo, s5, v55, vcc_lo
	s_clause 0x8
	global_load_b128 v[142:145], v57, s[4:5] offset:1152
	global_load_b128 v[138:141], v[54:55], off offset:1152
	global_load_b128 v[134:137], v57, s[4:5] offset:1184
	global_load_b128 v[130:133], v[54:55], off offset:1184
	;; [unrolled: 2-line block ×3, first 2 shown]
	global_load_b128 v[126:129], v56, s[4:5] offset:1136
	global_load_b128 v[122:125], v56, s[4:5] offset:1168
	;; [unrolled: 1-line block ×3, first 2 shown]
	v_lshlrev_b64 v[56:57], 4, v[32:33]
	v_mul_i32_i24_e32 v32, 5, v202
	global_load_b128 v[106:109], v[54:55], off offset:1136
	v_or_b32_e32 v241, 0x1700, v208
	v_or_b32_e32 v242, 0x1c00, v208
	v_or_b32_e32 v243, 0x1300, v208
	v_lshlrev_b64 v[32:33], 4, v[32:33]
	v_add_co_u32 v56, vcc_lo, s4, v56
	v_add_co_ci_u32_e32 v57, vcc_lo, s5, v57, vcc_lo
	s_clause 0x1
	global_load_b128 v[78:81], v[54:55], off offset:1168
	global_load_b128 v[74:77], v[56:57], off offset:1136
	v_add_co_u32 v32, vcc_lo, s4, v32
	s_clause 0x3
	global_load_b128 v[70:73], v[56:57], off offset:1168
	global_load_b128 v[58:61], v[56:57], off offset:1120
	;; [unrolled: 1-line block ×4, first 2 shown]
	v_add_co_ci_u32_e32 v33, vcc_lo, s5, v33, vcc_lo
	s_clause 0x4
	global_load_b128 v[86:89], v[32:33], off offset:1136
	global_load_b128 v[82:85], v[32:33], off offset:1168
	;; [unrolled: 1-line block ×5, first 2 shown]
	ds_load_2addr_b64 v[170:173], v209 offset0:224 offset1:240
	v_add_nc_u32_e32 v32, 0x800, v209
	ds_load_2addr_b64 v[98:101], v209 offset0:64 offset1:80
	ds_load_2addr_b64 v[190:193], v209 offset0:128 offset1:144
	ds_load_2addr_b64 v[166:169], v209 offset0:192 offset1:208
	ds_load_2addr_b64 v[158:161], v209 offset0:96 offset1:112
	ds_load_2addr_b64 v[162:165], v209 offset0:160 offset1:176
	ds_load_2addr_b64 v[211:214], v32 offset0:128 offset1:144
	v_or_b32_e32 v244, 0x1800, v208
	v_or_b32_e32 v209, 0x1d00, v208
	s_waitcnt vmcnt(24) lgkmcnt(6)
	v_mul_f64 v[223:224], v[148:149], v[172:173]
	v_mul_f64 v[225:226], v[52:53], v[148:149]
	ds_load_b64 v[204:205], v176
	ds_load_b64 v[148:149], v210
	;; [unrolled: 1-line block ×4, first 2 shown]
	ds_load_2addr_b64 v[215:218], v32 offset0:32 offset1:48
	v_or_b32_e32 v210, 0x1000, v208
	s_waitcnt vmcnt(23)
	v_mul_f64 v[227:228], v[50:51], v[104:105]
	v_mul_f64 v[104:105], v[170:171], v[104:105]
	s_waitcnt vmcnt(22) lgkmcnt(5)
	v_mul_f64 v[229:230], v[156:157], v[213:214]
	v_mul_f64 v[231:232], v[48:49], v[156:157]
	v_add_co_u32 v156, vcc_lo, s8, v174
	v_add_co_ci_u32_e32 v157, vcc_lo, s9, v175, vcc_lo
	ds_load_2addr_b64 v[219:222], v32 offset0:192 offset1:208
	ds_load_2addr_b64 v[182:185], v32 offset0:96 offset1:112
	ds_load_2addr_b64 v[174:177], v32 offset1:16
	ds_load_2addr_b64 v[178:181], v32 offset0:160 offset1:176
	ds_load_2addr_b64 v[186:189], v32 offset0:64 offset1:80
	s_waitcnt vmcnt(21)
	v_mul_f64 v[233:234], v[46:47], v[152:153]
	v_mul_f64 v[152:153], v[211:212], v[152:153]
	v_add_co_u32 v32, vcc_lo, v156, v208
	v_add_co_ci_u32_e32 v33, vcc_lo, 0, v157, vcc_lo
	v_fma_f64 v[223:224], v[52:53], v[146:147], v[223:224]
	v_fma_f64 v[146:147], v[146:147], v[172:173], -v[225:226]
	s_waitcnt vmcnt(20) lgkmcnt(5)
	v_mul_f64 v[172:173], v[144:145], v[217:218]
	v_mul_f64 v[144:145], v[44:45], v[144:145]
	v_add_co_u32 v52, vcc_lo, v156, v210
	v_add_co_ci_u32_e32 v53, vcc_lo, 0, v157, vcc_lo
	v_fma_f64 v[170:171], v[102:103], v[170:171], -v[227:228]
	v_fma_f64 v[227:228], v[50:51], v[102:103], v[104:105]
	v_add_co_u32 v102, vcc_lo, v156, v235
	v_add_co_ci_u32_e32 v103, vcc_lo, 0, v157, vcc_lo
	s_waitcnt vmcnt(19)
	v_mul_f64 v[225:226], v[140:141], v[215:216]
	v_mul_f64 v[140:141], v[42:43], v[140:141]
	v_add_co_u32 v50, vcc_lo, v156, v236
	s_waitcnt vmcnt(18) lgkmcnt(4)
	v_mul_f64 v[235:236], v[136:137], v[221:222]
	v_mul_f64 v[136:137], v[40:41], v[136:137]
	v_fma_f64 v[229:230], v[48:49], v[154:155], v[229:230]
	v_fma_f64 v[154:155], v[154:155], v[213:214], -v[231:232]
	s_waitcnt vmcnt(17)
	v_mul_f64 v[213:214], v[132:133], v[219:220]
	v_mul_f64 v[132:133], v[38:39], v[132:133]
	s_waitcnt vmcnt(16)
	v_mul_f64 v[231:232], v[120:121], v[192:193]
	v_mul_f64 v[120:121], v[36:37], v[120:121]
	v_fma_f64 v[210:211], v[150:151], v[211:212], -v[233:234]
	v_fma_f64 v[150:151], v[46:47], v[150:151], v[152:153]
	s_waitcnt vmcnt(15)
	v_mul_f64 v[152:153], v[112:113], v[190:191]
	v_mul_f64 v[112:113], v[34:35], v[112:113]
	s_waitcnt vmcnt(14)
	v_mul_f64 v[233:234], v[4:5], v[128:129]
	v_mul_f64 v[128:129], v[162:163], v[128:129]
	v_add_co_ci_u32_e32 v51, vcc_lo, 0, v157, vcc_lo
	v_add_co_u32 v48, vcc_lo, v156, v237
	v_add_co_ci_u32_e32 v49, vcc_lo, 0, v157, vcc_lo
	v_add_co_u32 v46, vcc_lo, v156, v238
	v_fma_f64 v[44:45], v[44:45], v[142:143], v[172:173]
	v_fma_f64 v[142:143], v[142:143], v[217:218], -v[144:145]
	s_waitcnt vmcnt(13)
	v_mul_f64 v[144:145], v[16:17], v[124:125]
	s_waitcnt lgkmcnt(0)
	v_mul_f64 v[124:125], v[186:187], v[124:125]
	s_waitcnt vmcnt(12)
	v_mul_f64 v[172:173], v[2:3], v[116:117]
	s_waitcnt vmcnt(7)
	v_mul_f64 v[217:218], v[60:61], v[160:161]
	v_mul_f64 v[60:61], v[10:11], v[60:61]
	v_add_co_ci_u32_e32 v47, vcc_lo, 0, v157, vcc_lo
	v_add_co_u32 v104, vcc_lo, v156, v239
	v_add_co_ci_u32_e32 v105, vcc_lo, 0, v157, vcc_lo
	v_fma_f64 v[42:43], v[42:43], v[138:139], v[225:226]
	v_fma_f64 v[138:139], v[138:139], v[215:216], -v[140:141]
	v_mul_f64 v[140:141], v[2:3], v[114:115]
	v_mul_f64 v[215:216], v[26:27], v[108:109]
	;; [unrolled: 1-line block ×3, first 2 shown]
	v_fma_f64 v[40:41], v[40:41], v[134:135], v[235:236]
	v_fma_f64 v[134:135], v[134:135], v[221:222], -v[136:137]
	v_mul_f64 v[136:137], v[30:31], v[80:81]
	v_mul_f64 v[80:81], v[184:185], v[80:81]
	v_fma_f64 v[38:39], v[38:39], v[130:131], v[213:214]
	v_mul_f64 v[212:213], v[24:25], v[76:77]
	v_mul_f64 v[76:77], v[166:167], v[76:77]
	v_fma_f64 v[130:131], v[130:131], v[219:220], -v[132:133]
	v_mul_f64 v[132:133], v[28:29], v[72:73]
	v_mul_f64 v[72:73], v[182:183], v[72:73]
	s_waitcnt vmcnt(6)
	v_mul_f64 v[219:220], v[92:93], v[176:177]
	v_fma_f64 v[36:37], v[36:37], v[118:119], v[231:232]
	v_fma_f64 v[118:119], v[118:119], v[192:193], -v[120:121]
	s_waitcnt vmcnt(5)
	v_mul_f64 v[120:121], v[96:97], v[180:181]
	v_mul_f64 v[92:93], v[14:15], v[92:93]
	;; [unrolled: 1-line block ×3, first 2 shown]
	s_waitcnt vmcnt(1)
	v_mul_f64 v[192:193], v[64:65], v[174:175]
	v_mul_f64 v[64:65], v[12:13], v[64:65]
	v_fma_f64 v[152:153], v[34:35], v[110:111], v[152:153]
	v_fma_f64 v[110:111], v[110:111], v[190:191], -v[112:113]
	v_mul_f64 v[190:191], v[18:19], v[84:85]
	v_mul_f64 v[84:85], v[188:189], v[84:85]
	v_fma_f64 v[144:145], v[122:123], v[186:187], -v[144:145]
	v_fma_f64 v[122:123], v[16:17], v[122:123], v[124:125]
	s_waitcnt vmcnt(0)
	v_mul_f64 v[124:125], v[68:69], v[178:179]
	v_mul_f64 v[68:69], v[20:21], v[68:69]
	v_fma_f64 v[162:163], v[162:163], v[126:127], -v[233:234]
	v_fma_f64 v[126:127], v[4:5], v[126:127], v[128:129]
	v_mul_f64 v[128:129], v[56:57], v[158:159]
	v_fma_f64 v[114:115], v[100:101], v[114:115], -v[172:173]
	v_mul_f64 v[56:57], v[8:9], v[56:57]
	v_mul_f64 v[112:113], v[6:7], v[88:89]
	;; [unrolled: 1-line block ×3, first 2 shown]
	v_fma_f64 v[10:11], v[10:11], v[58:59], v[217:218]
	v_fma_f64 v[58:59], v[58:59], v[160:161], -v[60:61]
	v_fma_f64 v[100:101], v[100:101], v[116:117], v[140:141]
	v_fma_f64 v[116:117], v[106:107], v[168:169], -v[215:216]
	v_fma_f64 v[106:107], v[26:27], v[106:107], v[108:109]
	v_add_co_u32 v2, vcc_lo, v156, v240
	v_fma_f64 v[108:109], v[78:79], v[184:185], -v[136:137]
	v_fma_f64 v[30:31], v[30:31], v[78:79], v[80:81]
	v_add_f64 v[80:81], v[146:147], -v[154:155]
	v_fma_f64 v[78:79], v[74:75], v[166:167], -v[212:213]
	v_fma_f64 v[24:25], v[24:25], v[74:75], v[76:77]
	v_add_f64 v[160:161], v[138:139], v[130:131]
	v_fma_f64 v[74:75], v[70:71], v[182:183], -v[132:133]
	v_fma_f64 v[28:29], v[28:29], v[70:71], v[72:73]
	v_fma_f64 v[14:15], v[14:15], v[90:91], v[219:220]
	v_add_f64 v[132:133], v[44:45], -v[40:41]
	v_add_f64 v[136:137], v[98:99], v[170:171]
	v_fma_f64 v[22:23], v[22:23], v[94:95], v[120:121]
	v_fma_f64 v[70:71], v[90:91], v[176:177], -v[92:93]
	v_fma_f64 v[72:73], v[94:95], v[180:181], -v[96:97]
	v_fma_f64 v[12:13], v[12:13], v[62:63], v[192:193]
	v_fma_f64 v[62:63], v[62:63], v[174:175], -v[64:65]
	v_add_f64 v[166:167], v[42:43], v[38:39]
	v_add_f64 v[140:141], v[118:119], v[142:143]
	v_fma_f64 v[76:77], v[82:83], v[188:189], -v[190:191]
	v_fma_f64 v[18:19], v[18:19], v[82:83], v[84:85]
	v_add_f64 v[82:83], v[146:147], v[154:155]
	v_add_f64 v[84:85], v[223:224], -v[229:230]
	v_fma_f64 v[20:21], v[20:21], v[66:67], v[124:125]
	v_fma_f64 v[64:65], v[66:67], v[178:179], -v[68:69]
	v_add_f64 v[124:125], v[44:45], v[40:41]
	v_add_f64 v[44:45], v[36:37], v[44:45]
	v_fma_f64 v[8:9], v[8:9], v[54:55], v[128:129]
	v_add_f64 v[128:129], v[142:143], v[134:135]
	v_fma_f64 v[54:55], v[54:55], v[158:159], -v[56:57]
	v_add_f64 v[56:57], v[162:163], v[144:145]
	v_fma_f64 v[60:61], v[86:87], v[164:165], -v[112:113]
	v_fma_f64 v[6:7], v[6:7], v[86:87], v[88:89]
	v_add_f64 v[68:69], v[223:224], v[229:230]
	v_add_f64 v[86:87], v[206:207], v[162:163]
	;; [unrolled: 1-line block ×5, first 2 shown]
	v_add_f64 v[146:147], v[170:171], -v[210:211]
	v_add_f64 v[170:171], v[42:43], -v[38:39]
	;; [unrolled: 1-line block ×3, first 2 shown]
	v_add_f64 v[176:177], v[106:107], v[30:31]
	v_add_f64 v[106:107], v[198:199], v[106:107]
	;; [unrolled: 1-line block ×5, first 2 shown]
	v_add_f64 v[180:181], v[24:25], -v[28:29]
	v_add_f64 v[192:193], v[24:25], v[28:29]
	v_add_f64 v[24:25], v[196:197], v[24:25]
	v_add_f64 v[66:67], v[126:127], -v[122:123]
	v_add_f64 v[126:127], v[142:143], -v[134:135]
	v_add_f64 v[142:143], v[227:228], v[150:151]
	v_add_f64 v[174:175], v[70:71], v[72:73]
	v_add_f64 v[168:169], v[138:139], -v[130:131]
	v_add_f64 v[138:139], v[110:111], v[138:139]
	v_add_f64 v[182:183], v[14:15], v[22:23]
	v_add_f64 v[188:189], v[14:15], -v[22:23]
	v_add_f64 v[14:15], v[10:11], v[14:15]
	v_fma_f64 v[110:111], v[160:161], -0.5, v[110:111]
	v_fma_f64 v[82:83], v[82:83], -0.5, v[114:115]
	v_add_f64 v[158:159], v[0:1], v[227:228]
	v_add_f64 v[186:187], v[70:71], -v[72:73]
	v_add_f64 v[184:185], v[62:63], v[64:65]
	v_add_f64 v[70:71], v[58:59], v[70:71]
	;; [unrolled: 1-line block ×3, first 2 shown]
	v_add_f64 v[218:219], v[12:13], -v[20:21]
	v_fma_f64 v[118:119], v[128:129], -0.5, v[118:119]
	v_add_f64 v[40:41], v[44:45], v[40:41]
	v_fma_f64 v[56:57], v[56:57], -0.5, v[206:207]
	v_add_f64 v[92:93], v[162:163], -v[144:145]
	v_add_f64 v[162:163], v[116:117], v[108:109]
	v_add_f64 v[178:179], v[78:79], v[74:75]
	;; [unrolled: 1-line block ×3, first 2 shown]
	v_fma_f64 v[68:69], v[68:69], -0.5, v[100:101]
	v_add_f64 v[86:87], v[86:87], v[144:145]
	v_add_f64 v[88:89], v[88:89], v[154:155]
	v_fma_f64 v[90:91], v[90:91], -0.5, v[200:201]
	v_fma_f64 v[36:37], v[124:125], -0.5, v[36:37]
	v_add_f64 v[212:213], v[6:7], -v[18:19]
	v_add_f64 v[216:217], v[62:63], -v[64:65]
	v_add_f64 v[106:107], v[106:107], v[30:31]
	v_add_f64 v[42:43], v[42:43], v[38:39]
	;; [unrolled: 1-line block ×9, first 2 shown]
	v_add_f64 v[120:121], v[227:228], -v[150:151]
	v_fma_f64 v[58:59], v[174:175], -0.5, v[58:59]
	v_fma_f64 v[98:99], v[112:113], -0.5, v[98:99]
	;; [unrolled: 1-line block ×4, first 2 shown]
	v_add_f64 v[172:173], v[204:205], v[116:117]
	v_add_f64 v[14:15], v[14:15], v[22:23]
	;; [unrolled: 1-line block ×3, first 2 shown]
	v_fma_f64 v[30:31], v[84:85], s[0:1], v[82:83]
	v_fma_f64 v[38:39], v[84:85], s[2:3], v[82:83]
	v_add_f64 v[122:123], v[158:159], v[150:151]
	v_fma_f64 v[44:45], v[184:185], -0.5, v[54:55]
	v_fma_f64 v[84:85], v[182:183], -0.5, v[10:11]
	v_add_f64 v[114:115], v[60:61], v[76:77]
	v_add_f64 v[130:131], v[138:139], v[130:131]
	v_fma_f64 v[24:25], v[132:133], s[0:1], v[118:119]
	v_fma_f64 v[22:23], v[132:133], s[2:3], v[118:119]
	;; [unrolled: 1-line block ×4, first 2 shown]
	v_fma_f64 v[28:29], v[214:215], -0.5, v[8:9]
	v_fma_f64 v[138:139], v[66:67], s[0:1], v[56:57]
	v_fma_f64 v[144:145], v[66:67], s[2:3], v[56:57]
	v_fma_f64 v[54:55], v[162:163], -0.5, v[204:205]
	v_add_f64 v[190:191], v[148:149], v[78:79]
	v_add_f64 v[220:221], v[202:203], v[60:61]
	v_add_f64 v[116:117], v[116:117], -v[108:109]
	v_fma_f64 v[134:135], v[176:177], -0.5, v[198:199]
	v_fma_f64 v[82:83], v[178:179], -0.5, v[148:149]
	v_add_f64 v[132:133], v[12:13], v[20:21]
	v_fma_f64 v[140:141], v[80:81], s[2:3], v[68:69]
	v_fma_f64 v[56:57], v[80:81], s[0:1], v[68:69]
	v_add_f64 v[8:9], v[86:87], -v[88:89]
	v_fma_f64 v[148:149], v[92:93], s[2:3], v[90:91]
	v_fma_f64 v[90:91], v[92:93], s[0:1], v[90:91]
	v_add_f64 v[12:13], v[86:87], v[88:89]
	v_fma_f64 v[68:69], v[126:127], s[2:3], v[36:37]
	v_fma_f64 v[80:81], v[126:127], s[0:1], v[36:37]
	v_add_f64 v[62:63], v[62:63], v[64:65]
	v_fma_f64 v[64:65], v[128:129], -0.5, v[194:195]
	v_fma_f64 v[142:143], v[188:189], s[0:1], v[58:59]
	v_fma_f64 v[58:59], v[188:189], s[2:3], v[58:59]
	v_add_f64 v[128:129], v[6:7], v[18:19]
	v_add_f64 v[6:7], v[94:95], -v[96:97]
	v_add_f64 v[10:11], v[94:95], v[96:97]
	v_fma_f64 v[86:87], v[120:121], s[0:1], v[98:99]
	v_fma_f64 v[94:95], v[120:121], s[2:3], v[98:99]
	v_mul_f64 v[36:37], v[30:31], -0.5
	v_mul_f64 v[88:89], v[38:39], 0.5
	v_mul_f64 v[92:93], v[30:31], s[0:1]
	v_fma_f64 v[66:67], v[218:219], s[0:1], v[44:45]
	v_fma_f64 v[44:45], v[218:219], s[2:3], v[44:45]
	v_mul_f64 v[38:39], v[38:39], s[0:1]
	v_fma_f64 v[150:151], v[146:147], s[2:3], v[0:1]
	v_mul_f64 v[96:97], v[24:25], -0.5
	v_mul_f64 v[126:127], v[24:25], s[0:1]
	v_fma_f64 v[0:1], v[146:147], s[0:1], v[0:1]
	v_fma_f64 v[98:99], v[168:169], s[2:3], v[124:125]
	v_mul_f64 v[120:121], v[22:23], 0.5
	v_mul_f64 v[146:147], v[22:23], s[0:1]
	v_fma_f64 v[124:125], v[168:169], s[0:1], v[124:125]
	v_mul_f64 v[154:155], v[110:111], 0.5
	v_mul_f64 v[110:111], v[110:111], s[0:1]
	v_mul_f64 v[152:153], v[118:119], -0.5
	v_mul_f64 v[118:119], v[118:119], s[0:1]
	v_add_f64 v[78:79], v[78:79], -v[74:75]
	v_add_f64 v[108:109], v[172:173], v[108:109]
	v_add_f64 v[70:71], v[70:71], v[72:73]
	v_fma_f64 v[72:73], v[192:193], -0.5, v[196:197]
	v_add_f64 v[20:21], v[100:101], -v[112:113]
	v_add_f64 v[18:19], v[122:123], -v[40:41]
	v_add_f64 v[24:25], v[100:101], v[112:113]
	v_add_f64 v[22:23], v[122:123], v[40:41]
	v_fma_f64 v[100:101], v[186:187], s[2:3], v[84:85]
	v_fma_f64 v[84:85], v[186:187], s[0:1], v[84:85]
	v_add_f64 v[60:61], v[60:61], -v[76:77]
	v_fma_f64 v[114:115], v[114:115], -0.5, v[202:203]
	v_fma_f64 v[162:163], v[216:217], s[2:3], v[28:29]
	v_mul_f64 v[112:113], v[142:143], -0.5
	v_mul_f64 v[122:123], v[58:59], 0.5
	v_mul_f64 v[58:59], v[58:59], s[0:1]
	v_mul_f64 v[142:143], v[142:143], s[0:1]
	v_fma_f64 v[158:159], v[164:165], s[0:1], v[54:55]
	v_fma_f64 v[160:161], v[164:165], s[2:3], v[54:55]
	;; [unrolled: 1-line block ×3, first 2 shown]
	v_add_f64 v[74:75], v[190:191], v[74:75]
	v_add_f64 v[76:77], v[220:221], v[76:77]
	v_fma_f64 v[170:171], v[116:117], s[2:3], v[134:135]
	v_mul_f64 v[166:167], v[66:67], -0.5
	v_mul_f64 v[66:67], v[66:67], s[0:1]
	v_mul_f64 v[168:169], v[44:45], 0.5
	v_mul_f64 v[44:45], v[44:45], s[0:1]
	v_fma_f64 v[134:135], v[116:117], s[0:1], v[134:135]
	v_fma_f64 v[116:117], v[140:141], s[2:3], v[36:37]
	;; [unrolled: 1-line block ×3, first 2 shown]
	v_fma_f64 v[92:93], v[140:141], -0.5, v[92:93]
	v_fma_f64 v[140:141], v[56:57], 0.5, v[38:39]
	v_fma_f64 v[96:97], v[68:69], s[2:3], v[96:97]
	v_fma_f64 v[172:173], v[68:69], -0.5, v[126:127]
	v_add_f64 v[28:29], v[106:107], -v[42:43]
	v_add_f64 v[36:37], v[106:107], v[42:43]
	v_fma_f64 v[106:107], v[80:81], s[2:3], v[120:121]
	v_fma_f64 v[174:175], v[80:81], 0.5, v[146:147]
	v_fma_f64 v[146:147], v[124:125], s[2:3], v[154:155]
	v_fma_f64 v[124:125], v[124:125], 0.5, v[110:111]
	v_fma_f64 v[120:121], v[98:99], s[2:3], v[152:153]
	v_fma_f64 v[118:119], v[98:99], -0.5, v[118:119]
	v_add_f64 v[30:31], v[108:109], -v[130:131]
	v_add_f64 v[38:39], v[108:109], v[130:131]
	v_fma_f64 v[130:131], v[180:181], s[0:1], v[82:83]
	v_fma_f64 v[82:83], v[180:181], s[2:3], v[82:83]
	;; [unrolled: 1-line block ×3, first 2 shown]
	v_add_f64 v[40:41], v[136:137], -v[14:15]
	v_add_f64 v[54:55], v[136:137], v[14:15]
	v_fma_f64 v[126:127], v[78:79], s[2:3], v[72:73]
	v_fma_f64 v[176:177], v[212:213], s[0:1], v[114:115]
	;; [unrolled: 1-line block ×4, first 2 shown]
	v_fma_f64 v[154:155], v[84:85], 0.5, v[58:59]
	v_fma_f64 v[142:143], v[100:101], -0.5, v[142:143]
	v_fma_f64 v[180:181], v[60:61], s[2:3], v[64:65]
	v_fma_f64 v[178:179], v[212:213], s[2:3], v[114:115]
	;; [unrolled: 1-line block ×3, first 2 shown]
	v_add_f64 v[56:57], v[74:75], v[70:71]
	v_add_f64 v[60:61], v[76:77], -v[62:63]
	v_add_f64 v[64:65], v[76:77], v[62:63]
	v_fma_f64 v[166:167], v[162:163], s[2:3], v[166:167]
	v_fma_f64 v[162:163], v[162:163], -0.5, v[66:67]
	v_fma_f64 v[168:169], v[164:165], s[2:3], v[168:169]
	v_fma_f64 v[44:45], v[164:165], 0.5, v[44:45]
	v_add_f64 v[62:63], v[128:129], v[132:133]
	v_add_f64 v[42:43], v[74:75], -v[70:71]
	v_add_f64 v[72:73], v[144:145], -v[88:89]
	;; [unrolled: 1-line block ×5, first 2 shown]
	v_add_f64 v[80:81], v[144:145], v[88:89]
	v_add_f64 v[78:79], v[90:91], v[140:141]
	v_add_f64 v[84:85], v[86:87], -v[96:97]
	v_add_f64 v[88:89], v[86:87], v[96:97]
	v_add_f64 v[86:87], v[150:151], v[172:173]
	;; [unrolled: 1-line block ×4, first 2 shown]
	v_add_f64 v[96:97], v[94:95], -v[106:107]
	v_add_f64 v[108:109], v[160:161], -v[146:147]
	;; [unrolled: 1-line block ×3, first 2 shown]
	v_add_f64 v[90:91], v[0:1], v[174:175]
	v_add_f64 v[76:77], v[138:139], v[116:117]
	;; [unrolled: 1-line block ×4, first 2 shown]
	v_add_f64 v[100:101], v[158:159], -v[120:121]
	v_add_f64 v[98:99], v[170:171], -v[118:119]
	v_add_f64 v[112:113], v[158:159], v[120:121]
	v_add_f64 v[110:111], v[170:171], v[118:119]
	v_add_f64 v[120:121], v[130:131], -v[14:15]
	v_add_f64 v[124:125], v[82:83], -v[136:137]
	;; [unrolled: 1-line block ×4, first 2 shown]
	v_add_co_ci_u32_e32 v3, vcc_lo, 0, v157, vcc_lo
	v_add_f64 v[58:59], v[128:129], -v[132:133]
	v_add_f64 v[128:129], v[130:131], v[14:15]
	v_add_f64 v[126:127], v[126:127], v[142:143]
	v_add_co_u32 v16, vcc_lo, v156, v241
	v_add_f64 v[132:133], v[82:83], v[136:137]
	v_add_f64 v[136:137], v[176:177], v[166:167]
	;; [unrolled: 1-line block ×3, first 2 shown]
	v_add_co_ci_u32_e32 v17, vcc_lo, 0, v157, vcc_lo
	v_add_co_u32 v26, vcc_lo, v156, v242
	v_add_f64 v[140:141], v[178:179], -v[168:169]
	v_add_f64 v[138:139], v[182:183], -v[44:45]
	v_add_f64 v[130:131], v[152:153], v[154:155]
	v_add_co_ci_u32_e32 v27, vcc_lo, 0, v157, vcc_lo
	v_add_f64 v[144:145], v[178:179], v[168:169]
	v_add_f64 v[142:143], v[182:183], v[44:45]
	v_add_co_u32 v34, vcc_lo, v156, v243
	v_add_f64 v[148:149], v[176:177], -v[166:167]
	v_add_f64 v[146:147], v[180:181], -v[162:163]
	v_add_co_ci_u32_e32 v35, vcc_lo, 0, v157, vcc_lo
	v_add_f64 v[94:95], v[0:1], -v[174:175]
	v_add_co_u32 v4, vcc_lo, v156, v244
	v_add_f64 v[82:83], v[150:151], -v[172:173]
	v_add_co_ci_u32_e32 v5, vcc_lo, 0, v157, vcc_lo
	v_add_co_u32 v0, vcc_lo, v156, v209
	v_add_co_ci_u32_e32 v1, vcc_lo, 0, v157, vcc_lo
	v_add_co_u32 v14, vcc_lo, 0x1000, v32
	v_add_co_ci_u32_e32 v15, vcc_lo, 0, v33, vcc_lo
	s_clause 0x1d
	global_store_b128 v[32:33], v[36:39], off offset:768
	global_store_b128 v[32:33], v[54:57], off offset:512
	global_store_b128 v[32:33], v[10:13], off
	global_store_b128 v[32:33], v[62:65], off offset:256
	global_store_b128 v[14:15], v[70:73], off offset:1024
	;; [unrolled: 1-line block ×7, first 2 shown]
	global_store_b128 v[2:3], v[28:31], off
	global_store_b128 v[16:17], v[106:109], off
	global_store_b128 v[32:33], v[90:93], off offset:2304
	global_store_b128 v[32:33], v[114:117], off offset:2048
	global_store_b128 v[34:35], v[18:21], off
	global_store_b128 v[26:27], v[98:101], off
	;; [unrolled: 1-line block ×4, first 2 shown]
	global_store_b128 v[32:33], v[110:113], off offset:3328
	global_store_b128 v[32:33], v[126:129], off offset:3072
	;; [unrolled: 1-line block ×4, first 2 shown]
	global_store_b128 v[52:53], v[58:61], off
	global_store_b128 v[102:103], v[138:141], off
	global_store_b128 v[32:33], v[130:133], off offset:1792
	global_store_b128 v[32:33], v[142:145], off offset:1536
	global_store_b128 v[48:49], v[40:43], off
	global_store_b128 v[50:51], v[146:149], off
	;; [unrolled: 1-line block ×4, first 2 shown]
.LBB0_23:
	s_nop 0
	s_sendmsg sendmsg(MSG_DEALLOC_VGPRS)
	s_endpgm
	.section	.rodata,"a",@progbits
	.p2align	6, 0x0
	.amdhsa_kernel fft_rtc_back_len480_factors_10_8_6_wgs_64_tpt_16_halfLds_dp_ip_CI_unitstride_sbrr_dirReg
		.amdhsa_group_segment_fixed_size 0
		.amdhsa_private_segment_fixed_size 0
		.amdhsa_kernarg_size 88
		.amdhsa_user_sgpr_count 15
		.amdhsa_user_sgpr_dispatch_ptr 0
		.amdhsa_user_sgpr_queue_ptr 0
		.amdhsa_user_sgpr_kernarg_segment_ptr 1
		.amdhsa_user_sgpr_dispatch_id 0
		.amdhsa_user_sgpr_private_segment_size 0
		.amdhsa_wavefront_size32 1
		.amdhsa_uses_dynamic_stack 0
		.amdhsa_enable_private_segment 0
		.amdhsa_system_sgpr_workgroup_id_x 1
		.amdhsa_system_sgpr_workgroup_id_y 0
		.amdhsa_system_sgpr_workgroup_id_z 0
		.amdhsa_system_sgpr_workgroup_info 0
		.amdhsa_system_vgpr_workitem_id 0
		.amdhsa_next_free_vgpr 245
		.amdhsa_next_free_sgpr 21
		.amdhsa_reserve_vcc 1
		.amdhsa_float_round_mode_32 0
		.amdhsa_float_round_mode_16_64 0
		.amdhsa_float_denorm_mode_32 3
		.amdhsa_float_denorm_mode_16_64 3
		.amdhsa_dx10_clamp 1
		.amdhsa_ieee_mode 1
		.amdhsa_fp16_overflow 0
		.amdhsa_workgroup_processor_mode 1
		.amdhsa_memory_ordered 1
		.amdhsa_forward_progress 0
		.amdhsa_shared_vgpr_count 0
		.amdhsa_exception_fp_ieee_invalid_op 0
		.amdhsa_exception_fp_denorm_src 0
		.amdhsa_exception_fp_ieee_div_zero 0
		.amdhsa_exception_fp_ieee_overflow 0
		.amdhsa_exception_fp_ieee_underflow 0
		.amdhsa_exception_fp_ieee_inexact 0
		.amdhsa_exception_int_div_zero 0
	.end_amdhsa_kernel
	.text
.Lfunc_end0:
	.size	fft_rtc_back_len480_factors_10_8_6_wgs_64_tpt_16_halfLds_dp_ip_CI_unitstride_sbrr_dirReg, .Lfunc_end0-fft_rtc_back_len480_factors_10_8_6_wgs_64_tpt_16_halfLds_dp_ip_CI_unitstride_sbrr_dirReg
                                        ; -- End function
	.section	.AMDGPU.csdata,"",@progbits
; Kernel info:
; codeLenInByte = 14452
; NumSgprs: 23
; NumVgprs: 245
; ScratchSize: 0
; MemoryBound: 1
; FloatMode: 240
; IeeeMode: 1
; LDSByteSize: 0 bytes/workgroup (compile time only)
; SGPRBlocks: 2
; VGPRBlocks: 30
; NumSGPRsForWavesPerEU: 23
; NumVGPRsForWavesPerEU: 245
; Occupancy: 5
; WaveLimiterHint : 1
; COMPUTE_PGM_RSRC2:SCRATCH_EN: 0
; COMPUTE_PGM_RSRC2:USER_SGPR: 15
; COMPUTE_PGM_RSRC2:TRAP_HANDLER: 0
; COMPUTE_PGM_RSRC2:TGID_X_EN: 1
; COMPUTE_PGM_RSRC2:TGID_Y_EN: 0
; COMPUTE_PGM_RSRC2:TGID_Z_EN: 0
; COMPUTE_PGM_RSRC2:TIDIG_COMP_CNT: 0
	.text
	.p2alignl 7, 3214868480
	.fill 96, 4, 3214868480
	.type	__hip_cuid_374691ab12a52ec,@object ; @__hip_cuid_374691ab12a52ec
	.section	.bss,"aw",@nobits
	.globl	__hip_cuid_374691ab12a52ec
__hip_cuid_374691ab12a52ec:
	.byte	0                               ; 0x0
	.size	__hip_cuid_374691ab12a52ec, 1

	.ident	"AMD clang version 19.0.0git (https://github.com/RadeonOpenCompute/llvm-project roc-6.4.0 25133 c7fe45cf4b819c5991fe208aaa96edf142730f1d)"
	.section	".note.GNU-stack","",@progbits
	.addrsig
	.addrsig_sym __hip_cuid_374691ab12a52ec
	.amdgpu_metadata
---
amdhsa.kernels:
  - .args:
      - .actual_access:  read_only
        .address_space:  global
        .offset:         0
        .size:           8
        .value_kind:     global_buffer
      - .offset:         8
        .size:           8
        .value_kind:     by_value
      - .actual_access:  read_only
        .address_space:  global
        .offset:         16
        .size:           8
        .value_kind:     global_buffer
      - .actual_access:  read_only
        .address_space:  global
        .offset:         24
        .size:           8
        .value_kind:     global_buffer
      - .offset:         32
        .size:           8
        .value_kind:     by_value
      - .actual_access:  read_only
        .address_space:  global
        .offset:         40
        .size:           8
        .value_kind:     global_buffer
      - .actual_access:  read_only
        .address_space:  global
        .offset:         48
        .size:           8
        .value_kind:     global_buffer
      - .offset:         56
        .size:           4
        .value_kind:     by_value
      - .actual_access:  read_only
        .address_space:  global
        .offset:         64
        .size:           8
        .value_kind:     global_buffer
      - .actual_access:  read_only
        .address_space:  global
        .offset:         72
        .size:           8
        .value_kind:     global_buffer
      - .address_space:  global
        .offset:         80
        .size:           8
        .value_kind:     global_buffer
    .group_segment_fixed_size: 0
    .kernarg_segment_align: 8
    .kernarg_segment_size: 88
    .language:       OpenCL C
    .language_version:
      - 2
      - 0
    .max_flat_workgroup_size: 64
    .name:           fft_rtc_back_len480_factors_10_8_6_wgs_64_tpt_16_halfLds_dp_ip_CI_unitstride_sbrr_dirReg
    .private_segment_fixed_size: 0
    .sgpr_count:     23
    .sgpr_spill_count: 0
    .symbol:         fft_rtc_back_len480_factors_10_8_6_wgs_64_tpt_16_halfLds_dp_ip_CI_unitstride_sbrr_dirReg.kd
    .uniform_work_group_size: 1
    .uses_dynamic_stack: false
    .vgpr_count:     245
    .vgpr_spill_count: 0
    .wavefront_size: 32
    .workgroup_processor_mode: 1
amdhsa.target:   amdgcn-amd-amdhsa--gfx1100
amdhsa.version:
  - 1
  - 2
...

	.end_amdgpu_metadata
